;; amdgpu-corpus repo=ROCm/rocFFT kind=compiled arch=gfx1201 opt=O3
	.text
	.amdgcn_target "amdgcn-amd-amdhsa--gfx1201"
	.amdhsa_code_object_version 6
	.protected	bluestein_single_fwd_len1274_dim1_dp_op_CI_CI ; -- Begin function bluestein_single_fwd_len1274_dim1_dp_op_CI_CI
	.globl	bluestein_single_fwd_len1274_dim1_dp_op_CI_CI
	.p2align	8
	.type	bluestein_single_fwd_len1274_dim1_dp_op_CI_CI,@function
bluestein_single_fwd_len1274_dim1_dp_op_CI_CI: ; @bluestein_single_fwd_len1274_dim1_dp_op_CI_CI
; %bb.0:
	s_load_b128 s[8:11], s[0:1], 0x28
	v_mul_u32_u24_e32 v1, 0x169, v0
	s_mov_b32 s2, exec_lo
	v_mov_b32_e32 v5, 0
	s_delay_alu instid0(VALU_DEP_2) | instskip(NEXT) | instid1(VALU_DEP_1)
	v_lshrrev_b32_e32 v1, 16, v1
	v_add_nc_u32_e32 v4, ttmp9, v1
	s_wait_kmcnt 0x0
	s_delay_alu instid0(VALU_DEP_1)
	v_cmpx_gt_u64_e64 s[8:9], v[4:5]
	s_cbranch_execz .LBB0_23
; %bb.1:
	s_clause 0x1
	s_load_b128 s[4:7], s[0:1], 0x18
	s_load_b64 s[16:17], s[0:1], 0x0
	v_mul_lo_u16 v1, 0xb6, v1
	s_movk_i32 s2, 0xfe39
	s_mov_b32 s3, -1
	v_mov_b32_e32 v5, v4
	s_delay_alu instid0(VALU_DEP_2) | instskip(SKIP_2) | instid1(VALU_DEP_1)
	v_sub_nc_u16 v16, v0, v1
	scratch_store_b64 off, v[5:6], off offset:8 ; 8-byte Folded Spill
	v_and_b32_e32 v180, 0xffff, v16
	v_lshlrev_b32_e32 v255, 4, v180
	s_wait_kmcnt 0x0
	s_load_b128 s[12:15], s[4:5], 0x0
	s_clause 0x3
	global_load_b128 v[58:61], v255, s[16:17] offset:10192
	global_load_b128 v[62:65], v255, s[16:17]
	global_load_b128 v[66:69], v255, s[16:17] offset:2912
	global_load_b128 v[70:73], v255, s[16:17] offset:13104
	s_wait_kmcnt 0x0
	v_mad_co_u64_u32 v[0:1], null, s14, v4, 0
	v_mad_co_u64_u32 v[2:3], null, s12, v180, 0
	s_mul_u64 s[4:5], s[12:13], 0x27d
	s_mul_u64 s[2:3], s[12:13], s[2:3]
	s_delay_alu instid0(SALU_CYCLE_1) | instskip(NEXT) | instid1(VALU_DEP_1)
	s_lshl_b64 s[2:3], s[2:3], 4
	v_mad_co_u64_u32 v[4:5], null, s15, v4, v[1:2]
	s_delay_alu instid0(VALU_DEP_1) | instskip(SKIP_1) | instid1(VALU_DEP_1)
	v_mad_co_u64_u32 v[5:6], null, s13, v180, v[3:4]
	v_mov_b32_e32 v1, v4
	v_lshlrev_b64_e32 v[0:1], 4, v[0:1]
	s_delay_alu instid0(VALU_DEP_3) | instskip(NEXT) | instid1(VALU_DEP_2)
	v_mov_b32_e32 v3, v5
	v_add_co_u32 v0, vcc_lo, s10, v0
	s_delay_alu instid0(VALU_DEP_2) | instskip(NEXT) | instid1(VALU_DEP_4)
	v_lshlrev_b64_e32 v[2:3], 4, v[2:3]
	v_add_co_ci_u32_e32 v1, vcc_lo, s11, v1, vcc_lo
	s_lshl_b64 s[10:11], s[4:5], 4
	s_delay_alu instid0(VALU_DEP_2) | instskip(SKIP_1) | instid1(VALU_DEP_2)
	v_add_co_u32 v0, vcc_lo, v0, v2
	s_wait_alu 0xfffd
	v_add_co_ci_u32_e32 v1, vcc_lo, v1, v3, vcc_lo
	s_wait_alu 0xfffe
	s_delay_alu instid0(VALU_DEP_2) | instskip(SKIP_1) | instid1(VALU_DEP_2)
	v_add_co_u32 v6, vcc_lo, v0, s10
	s_wait_alu 0xfffd
	v_add_co_ci_u32_e32 v7, vcc_lo, s11, v1, vcc_lo
	s_delay_alu instid0(VALU_DEP_2) | instskip(SKIP_1) | instid1(VALU_DEP_2)
	v_add_co_u32 v10, vcc_lo, v6, s2
	s_wait_alu 0xfffd
	v_add_co_ci_u32_e32 v11, vcc_lo, s3, v7, vcc_lo
	s_clause 0x1
	global_load_b128 v[2:5], v[0:1], off
	global_load_b128 v[6:9], v[6:7], off
	v_add_co_u32 v14, vcc_lo, v10, s10
	s_wait_alu 0xfffd
	v_add_co_ci_u32_e32 v15, vcc_lo, s11, v11, vcc_lo
	global_load_b128 v[10:13], v[10:11], off
	v_add_co_u32 v20, vcc_lo, v14, s2
	s_wait_alu 0xfffd
	v_add_co_ci_u32_e32 v21, vcc_lo, s3, v15, vcc_lo
	s_delay_alu instid0(VALU_DEP_2) | instskip(SKIP_1) | instid1(VALU_DEP_2)
	v_add_co_u32 v0, vcc_lo, v20, s10
	s_wait_alu 0xfffd
	v_add_co_ci_u32_e32 v1, vcc_lo, s11, v21, vcc_lo
	global_load_b128 v[24:27], v[14:15], off
	global_load_b128 v[74:77], v255, s[16:17] offset:5824
	global_load_b128 v[28:31], v[20:21], off
	global_load_b128 v[17:20], v255, s[16:17] offset:16016
	global_load_b128 v[32:35], v[0:1], off
	v_cmp_gt_u16_e32 vcc_lo, 0x5b, v16
	s_wait_loadcnt 0xa
	s_clause 0x1
	scratch_store_b128 off, v[62:65], off offset:32
	scratch_store_b128 off, v[58:61], off offset:16
	s_wait_loadcnt 0x9
	scratch_store_b128 off, v[66:69], off offset:48 ; 16-byte Folded Spill
	s_wait_loadcnt 0x8
	scratch_store_b128 off, v[70:73], off offset:64 ; 16-byte Folded Spill
	s_wait_loadcnt 0x7
	v_mul_f64_e32 v[14:15], v[4:5], v[64:65]
	v_mul_f64_e32 v[36:37], v[2:3], v[64:65]
	s_wait_loadcnt 0x6
	v_mul_f64_e32 v[38:39], v[8:9], v[60:61]
	v_mul_f64_e32 v[40:41], v[6:7], v[60:61]
	;; [unrolled: 3-line block ×6, first 2 shown]
	s_clause 0x1
	scratch_store_b128 off, v[74:77], off offset:80
	scratch_store_b128 off, v[17:20], off offset:96
	s_load_b64 s[8:9], s[0:1], 0x38
	s_load_b128 s[4:7], s[6:7], 0x0
	v_fma_f64 v[2:3], v[2:3], v[62:63], v[14:15]
	v_fma_f64 v[4:5], v[4:5], v[62:63], -v[36:37]
	v_fma_f64 v[6:7], v[6:7], v[58:59], v[38:39]
	v_fma_f64 v[8:9], v[8:9], v[58:59], -v[40:41]
	v_add_co_u32 v14, s12, s16, v255
	v_fma_f64 v[10:11], v[10:11], v[66:67], v[42:43]
	v_fma_f64 v[12:13], v[12:13], v[66:67], -v[44:45]
	s_wait_alu 0xf1ff
	v_add_co_ci_u32_e64 v15, null, s17, 0, s12
	v_fma_f64 v[24:25], v[24:25], v[70:71], v[46:47]
	v_fma_f64 v[26:27], v[26:27], v[70:71], -v[48:49]
	v_fma_f64 v[28:29], v[28:29], v[74:75], v[50:51]
	v_fma_f64 v[30:31], v[30:31], v[74:75], -v[52:53]
	;; [unrolled: 2-line block ×3, first 2 shown]
	scratch_store_b64 off, v[14:15], off    ; 8-byte Folded Spill
	ds_store_b128 v255, v[2:5]
	ds_store_b128 v255, v[10:13] offset:2912
	ds_store_b128 v255, v[6:9] offset:10192
	;; [unrolled: 1-line block ×5, first 2 shown]
	s_and_saveexec_b32 s12, vcc_lo
	s_cbranch_execz .LBB0_3
; %bb.2:
	v_add_co_u32 v0, s2, v0, s2
	s_wait_alu 0xf1ff
	v_add_co_ci_u32_e64 v1, s2, s3, v1, s2
	s_delay_alu instid0(VALU_DEP_2) | instskip(SKIP_1) | instid1(VALU_DEP_2)
	v_add_co_u32 v12, s2, v0, s10
	s_wait_alu 0xf1ff
	v_add_co_ci_u32_e64 v13, s2, s11, v1, s2
	global_load_b128 v[0:3], v[0:1], off
	scratch_load_b64 v[8:9], off, off       ; 8-byte Folded Reload
	s_wait_loadcnt 0x0
	s_clause 0x1
	global_load_b128 v[4:7], v[8:9], off offset:8736
	global_load_b128 v[8:11], v[8:9], off offset:18928
	global_load_b128 v[12:15], v[12:13], off
	s_wait_loadcnt 0x2
	v_mul_f64_e32 v[24:25], v[2:3], v[6:7]
	v_mul_f64_e32 v[6:7], v[0:1], v[6:7]
	s_wait_loadcnt 0x0
	v_mul_f64_e32 v[26:27], v[14:15], v[10:11]
	v_mul_f64_e32 v[10:11], v[12:13], v[10:11]
	s_delay_alu instid0(VALU_DEP_4) | instskip(NEXT) | instid1(VALU_DEP_4)
	v_fma_f64 v[0:1], v[0:1], v[4:5], v[24:25]
	v_fma_f64 v[2:3], v[2:3], v[4:5], -v[6:7]
	s_delay_alu instid0(VALU_DEP_4) | instskip(NEXT) | instid1(VALU_DEP_4)
	v_fma_f64 v[4:5], v[12:13], v[8:9], v[26:27]
	v_fma_f64 v[6:7], v[14:15], v[8:9], -v[10:11]
	ds_store_b128 v255, v[0:3] offset:8736
	ds_store_b128 v255, v[4:7] offset:18928
.LBB0_3:
	s_wait_alu 0xfffe
	s_or_b32 exec_lo, exec_lo, s12
	global_wb scope:SCOPE_SE
	s_wait_storecnt_dscnt 0x0
	s_wait_kmcnt 0x0
	s_barrier_signal -1
	s_barrier_wait -1
	global_inv scope:SCOPE_SE
	ds_load_b128 v[24:27], v255
	ds_load_b128 v[32:35], v255 offset:2912
	ds_load_b128 v[28:31], v255 offset:10192
	;; [unrolled: 1-line block ×5, first 2 shown]
                                        ; implicit-def: $vgpr48_vgpr49
                                        ; implicit-def: $vgpr52_vgpr53
	s_and_saveexec_b32 s2, vcc_lo
	s_cbranch_execz .LBB0_5
; %bb.4:
	ds_load_b128 v[48:51], v255 offset:8736
	ds_load_b128 v[52:55], v255 offset:18928
.LBB0_5:
	s_wait_alu 0xfffe
	s_or_b32 exec_lo, exec_lo, s2
	s_wait_dscnt 0x3
	v_add_f64_e64 v[28:29], v[24:25], -v[28:29]
	v_add_f64_e64 v[30:31], v[26:27], -v[30:31]
	s_wait_dscnt 0x1
	v_add_f64_e64 v[44:45], v[32:33], -v[44:45]
	v_add_f64_e64 v[46:47], v[34:35], -v[46:47]
	;; [unrolled: 3-line block ×3, first 2 shown]
	v_add_f64_e64 v[56:57], v[48:49], -v[52:53]
	v_add_f64_e64 v[58:59], v[50:51], -v[54:55]
	s_load_b64 s[2:3], s[0:1], 0x8
	v_lshlrev_b16 v0, 1, v180
	v_add_co_u32 v1, null, 0x222, v180
	v_lshlrev_b32_e32 v3, 5, v180
	global_wb scope:SCOPE_SE
	v_and_b32_e32 v0, 0xffff, v0
	s_wait_kmcnt 0x0
	s_barrier_signal -1
	s_barrier_wait -1
	global_inv scope:SCOPE_SE
	v_lshlrev_b32_e32 v2, 4, v0
	v_lshlrev_b32_e32 v0, 5, v1
	s_clause 0x1
	scratch_store_b32 off, v2, off offset:116
	scratch_store_b32 off, v0, off offset:112
	v_fma_f64 v[52:53], v[24:25], 2.0, -v[28:29]
	v_fma_f64 v[54:55], v[26:27], 2.0, -v[30:31]
	v_fma_f64 v[40:41], v[32:33], 2.0, -v[44:45]
	v_fma_f64 v[42:43], v[34:35], 2.0, -v[46:47]
	v_fma_f64 v[72:73], v[36:37], 2.0, -v[64:65]
	v_fma_f64 v[74:75], v[38:39], 2.0, -v[66:67]
	v_fma_f64 v[68:69], v[48:49], 2.0, -v[56:57]
	v_fma_f64 v[70:71], v[50:51], 2.0, -v[58:59]
	ds_store_b128 v2, v[52:55]
	ds_store_b128 v2, v[28:31] offset:16
	ds_store_b128 v3, v[40:43] offset:5824
	;; [unrolled: 1-line block ×5, first 2 shown]
	s_and_saveexec_b32 s0, vcc_lo
	s_cbranch_execz .LBB0_7
; %bb.6:
	scratch_load_b32 v0, off, off offset:112 ; 4-byte Folded Reload
	s_wait_loadcnt 0x0
	ds_store_b128 v0, v[68:71]
	ds_store_b128 v0, v[56:59] offset:16
.LBB0_7:
	s_wait_alu 0xfffe
	s_or_b32 exec_lo, exec_lo, s0
	v_cmp_gt_u16_e64 s0, 0x62, v180
	global_wb scope:SCOPE_SE
	s_wait_storecnt_dscnt 0x0
	s_barrier_signal -1
	s_barrier_wait -1
	global_inv scope:SCOPE_SE
                                        ; implicit-def: $vgpr76_vgpr77
                                        ; implicit-def: $vgpr80_vgpr81
                                        ; implicit-def: $vgpr84_vgpr85
                                        ; implicit-def: $vgpr48_vgpr49
                                        ; implicit-def: $vgpr60_vgpr61
	s_and_saveexec_b32 s1, s0
	s_cbranch_execz .LBB0_9
; %bb.8:
	ds_load_b128 v[52:55], v255
	ds_load_b128 v[28:31], v255 offset:1568
	ds_load_b128 v[40:43], v255 offset:3136
	;; [unrolled: 1-line block ×12, first 2 shown]
.LBB0_9:
	s_wait_alu 0xfffe
	s_or_b32 exec_lo, exec_lo, s1
	v_and_b32_e32 v0, 1, v180
	s_mov_b32 s25, 0xbfddbe06
	s_mov_b32 s24, 0x4267c47c
	;; [unrolled: 1-line block ×4, first 2 shown]
	v_mul_u32_u24_e32 v0, 12, v0
	s_mov_b32 s13, 0x3fec55a7
	s_mov_b32 s29, 0xbfea55e2
	;; [unrolled: 1-line block ×4, first 2 shown]
	v_lshlrev_b32_e32 v2, 4, v0
	s_mov_b32 s36, 0x66966769
	s_mov_b32 s37, 0xbfefc445
	;; [unrolled: 1-line block ×4, first 2 shown]
	s_clause 0x1
	global_load_b128 v[24:27], v2, s[2:3]
	global_load_b128 v[32:35], v2, s[2:3] offset:16
	s_mov_b32 s26, 0x2ef20147
	s_mov_b32 s27, 0xbfedeba7
	;; [unrolled: 1-line block ×18, first 2 shown]
	s_wait_loadcnt_dscnt 0x10b
	v_mul_f64_e32 v[0:1], v[28:29], v[26:27]
	s_delay_alu instid0(VALU_DEP_1) | instskip(SKIP_1) | instid1(VALU_DEP_1)
	v_fma_f64 v[146:147], v[30:31], v[24:25], v[0:1]
	v_mul_f64_e32 v[0:1], v[30:31], v[26:27]
	v_fma_f64 v[148:149], v[28:29], v[24:25], -v[0:1]
	s_clause 0x1
	global_load_b128 v[28:31], v2, s[2:3] offset:176
	global_load_b128 v[36:39], v2, s[2:3] offset:160
	s_wait_loadcnt_dscnt 0x100
	v_mul_f64_e32 v[0:1], v[60:61], v[30:31]
	s_delay_alu instid0(VALU_DEP_1) | instskip(SKIP_1) | instid1(VALU_DEP_2)
	v_fma_f64 v[22:23], v[62:63], v[28:29], v[0:1]
	v_mul_f64_e32 v[0:1], v[62:63], v[30:31]
	v_add_f64_e32 v[106:107], v[146:147], v[22:23]
	s_delay_alu instid0(VALU_DEP_2) | instskip(SKIP_1) | instid1(VALU_DEP_2)
	v_fma_f64 v[8:9], v[60:61], v[28:29], -v[0:1]
	v_mul_f64_e32 v[0:1], v[42:43], v[34:35]
	v_add_f64_e32 v[156:157], v[148:149], v[8:9]
	s_delay_alu instid0(VALU_DEP_2) | instskip(SKIP_1) | instid1(VALU_DEP_1)
	v_fma_f64 v[14:15], v[40:41], v[32:33], -v[0:1]
	v_mul_f64_e32 v[0:1], v[40:41], v[34:35]
	v_fma_f64 v[16:17], v[42:43], v[32:33], v[0:1]
	s_wait_loadcnt 0x0
	v_mul_f64_e32 v[0:1], v[48:49], v[38:39]
	s_delay_alu instid0(VALU_DEP_1) | instskip(SKIP_1) | instid1(VALU_DEP_2)
	v_fma_f64 v[10:11], v[50:51], v[36:37], v[0:1]
	v_mul_f64_e32 v[0:1], v[50:51], v[38:39]
	v_add_f64_e64 v[4:5], v[16:17], -v[10:11]
	s_delay_alu instid0(VALU_DEP_2)
	v_fma_f64 v[12:13], v[48:49], v[36:37], -v[0:1]
	s_clause 0x1
	global_load_b128 v[40:43], v2, s[2:3] offset:32
	global_load_b128 v[48:51], v2, s[2:3] offset:48
	v_add_f64_e32 v[154:155], v[16:17], v[10:11]
	v_mul_f64_e32 v[6:7], s[28:29], v[4:5]
	v_add_f64_e32 v[150:151], v[14:15], v[12:13]
	v_mul_f64_e32 v[191:192], s[26:27], v[4:5]
	v_mul_f64_e32 v[197:198], s[34:35], v[4:5]
	;; [unrolled: 1-line block ×4, first 2 shown]
	s_wait_loadcnt 0x1
	v_mul_f64_e32 v[0:1], v[46:47], v[42:43]
	s_delay_alu instid0(VALU_DEP_1) | instskip(SKIP_1) | instid1(VALU_DEP_1)
	v_fma_f64 v[18:19], v[44:45], v[40:41], -v[0:1]
	v_mul_f64_e32 v[0:1], v[44:45], v[42:43]
	v_fma_f64 v[20:21], v[46:47], v[40:41], v[0:1]
	s_clause 0x5
	global_load_b128 v[44:47], v2, s[2:3] offset:144
	global_load_b128 v[60:63], v2, s[2:3] offset:128
	;; [unrolled: 1-line block ×6, first 2 shown]
	s_clause 0x1
	scratch_store_b64 off, v[6:7], off offset:216
	scratch_store_b64 off, v[8:9], off offset:120
	s_wait_alu 0xfffe
	v_fma_f64 v[6:7], v[150:151], s[10:11], v[6:7]
	s_clause 0x3
	scratch_store_b64 off, v[12:13], off offset:136
	scratch_store_b64 off, v[14:15], off offset:144
	;; [unrolled: 1-line block ×4, first 2 shown]
	s_wait_loadcnt 0x5
	v_mul_f64_e32 v[0:1], v[86:87], v[46:47]
	s_delay_alu instid0(VALU_DEP_1) | instskip(SKIP_1) | instid1(VALU_DEP_2)
	v_fma_f64 v[92:93], v[84:85], v[44:45], -v[0:1]
	v_mul_f64_e32 v[0:1], v[84:85], v[46:47]
	v_add_f64_e32 v[158:159], v[18:19], v[92:93]
	s_delay_alu instid0(VALU_DEP_2) | instskip(SKIP_2) | instid1(VALU_DEP_3)
	v_fma_f64 v[86:87], v[86:87], v[44:45], v[0:1]
	v_mul_f64_e32 v[0:1], v[74:75], v[50:51]
	v_add_f64_e64 v[140:141], v[18:19], -v[92:93]
	v_add_f64_e64 v[84:85], v[20:21], -v[86:87]
	s_delay_alu instid0(VALU_DEP_3)
	v_fma_f64 v[94:95], v[72:73], v[48:49], -v[0:1]
	v_mul_f64_e32 v[0:1], v[72:73], v[50:51]
	v_add_f64_e64 v[72:73], v[14:15], -v[12:13]
	v_add_f64_e32 v[162:163], v[20:21], v[86:87]
	v_mul_f64_e32 v[201:202], s[34:35], v[140:141]
	v_mul_f64_e32 v[225:226], s[42:43], v[140:141]
	;; [unrolled: 1-line block ×5, first 2 shown]
	v_fma_f64 v[96:97], v[74:75], v[48:49], v[0:1]
	s_wait_loadcnt 0x4
	v_mul_f64_e32 v[0:1], v[80:81], v[62:63]
	v_mul_f64_e32 v[10:11], s[28:29], v[72:73]
	;; [unrolled: 1-line block ×6, first 2 shown]
	v_fma_f64 v[74:75], v[82:83], v[60:61], v[0:1]
	v_mul_f64_e32 v[0:1], v[82:83], v[62:63]
	scratch_store_b64 off, v[10:11], off offset:224 ; 8-byte Folded Spill
	v_fma_f64 v[10:11], v[154:155], s[10:11], -v[10:11]
	v_fma_f64 v[12:13], v[154:155], s[20:21], -v[237:238]
	v_add_f64_e64 v[142:143], v[96:97], -v[74:75]
	v_fma_f64 v[80:81], v[80:81], v[60:61], -v[0:1]
	s_wait_loadcnt 0x3
	v_mul_f64_e32 v[0:1], v[64:65], v[90:91]
	v_add_f64_e32 v[170:171], v[96:97], v[74:75]
	s_delay_alu instid0(VALU_DEP_4) | instskip(NEXT) | instid1(VALU_DEP_4)
	v_mul_f64_e32 v[199:200], s[40:41], v[142:143]
	v_add_f64_e32 v[166:167], v[94:95], v[80:81]
	s_delay_alu instid0(VALU_DEP_4) | instskip(SKIP_3) | instid1(VALU_DEP_3)
	v_fma_f64 v[82:83], v[66:67], v[88:89], v[0:1]
	v_mul_f64_e32 v[0:1], v[66:67], v[90:91]
	v_add_f64_e64 v[164:165], v[94:95], -v[80:81]
	v_mul_f64_e32 v[233:234], s[36:37], v[142:143]
	v_fma_f64 v[64:65], v[64:65], v[88:89], -v[0:1]
	s_wait_loadcnt 0x2
	v_mul_f64_e32 v[0:1], v[70:71], v[114:115]
	s_delay_alu instid0(VALU_DEP_4) | instskip(SKIP_3) | instid1(VALU_DEP_3)
	v_mul_f64_e32 v[207:208], s[40:41], v[164:165]
	v_mul_f64_e32 v[247:248], s[36:37], v[164:165]
	s_mov_b32 s41, 0x3fea55e2
	s_mov_b32 s40, s28
	v_fma_f64 v[66:67], v[68:69], v[112:113], -v[0:1]
	v_mul_f64_e32 v[0:1], v[68:69], v[114:115]
	s_delay_alu instid0(VALU_DEP_1) | instskip(SKIP_2) | instid1(VALU_DEP_1)
	v_fma_f64 v[68:69], v[70:71], v[112:113], v[0:1]
	s_wait_loadcnt 0x1
	v_mul_f64_e32 v[0:1], v[76:77], v[110:111]
	v_fma_f64 v[70:71], v[78:79], v[108:109], v[0:1]
	v_mul_f64_e32 v[0:1], v[78:79], v[110:111]
	s_delay_alu instid0(VALU_DEP_2) | instskip(NEXT) | instid1(VALU_DEP_2)
	v_add_f64_e64 v[172:173], v[82:83], -v[70:71]
	v_fma_f64 v[76:77], v[76:77], v[108:109], -v[0:1]
	s_wait_loadcnt 0x0
	v_mul_f64_e32 v[0:1], v[58:59], v[118:119]
	v_add_f64_e32 v[181:182], v[82:83], v[70:71]
	s_delay_alu instid0(VALU_DEP_4) | instskip(NEXT) | instid1(VALU_DEP_4)
	v_mul_f64_e32 v[205:206], s[38:39], v[172:173]
	v_add_f64_e32 v[174:175], v[64:65], v[76:77]
	s_delay_alu instid0(VALU_DEP_4) | instskip(SKIP_3) | instid1(VALU_DEP_4)
	v_fma_f64 v[78:79], v[56:57], v[116:117], -v[0:1]
	v_mul_f64_e32 v[0:1], v[56:57], v[118:119]
	v_add_f64_e64 v[183:184], v[64:65], -v[76:77]
	v_mul_f64_e32 v[221:222], s[28:29], v[172:173]
	v_add_f64_e32 v[185:186], v[66:67], v[78:79]
	s_delay_alu instid0(VALU_DEP_4) | instskip(SKIP_3) | instid1(VALU_DEP_4)
	v_fma_f64 v[56:57], v[58:59], v[116:117], v[0:1]
	v_add_f64_e64 v[0:1], v[146:147], -v[22:23]
	v_mul_f64_e32 v[219:220], s[38:39], v[183:184]
	v_mul_f64_e32 v[235:236], s[28:29], v[183:184]
	v_add_f64_e64 v[16:17], v[68:69], -v[56:57]
	s_delay_alu instid0(VALU_DEP_4)
	v_mul_f64_e32 v[152:153], s[24:25], v[0:1]
	v_add_f64_e32 v[189:190], v[68:69], v[56:57]
	v_mul_f64_e32 v[160:161], s[28:29], v[0:1]
	v_mul_f64_e32 v[187:188], s[36:37], v[0:1]
	;; [unrolled: 1-line block ×3, first 2 shown]
	v_fma_f64 v[2:3], v[156:157], s[12:13], v[152:153]
	s_wait_alu 0xfffe
	v_mul_f64_e32 v[241:242], s[40:41], v[16:17]
	v_mul_f64_e32 v[253:254], s[26:27], v[16:17]
	s_delay_alu instid0(VALU_DEP_3) | instskip(NEXT) | instid1(VALU_DEP_1)
	v_add_f64_e32 v[2:3], v[52:53], v[2:3]
	v_add_f64_e32 v[2:3], v[6:7], v[2:3]
	v_add_f64_e64 v[6:7], v[148:149], -v[8:9]
	s_delay_alu instid0(VALU_DEP_1)
	v_mul_f64_e32 v[104:105], s[24:25], v[6:7]
	v_mul_f64_e32 v[168:169], s[28:29], v[6:7]
	s_mov_b32 s25, 0x3fddbe06
	v_mul_f64_e32 v[144:145], s[36:37], v[6:7]
	s_wait_alu 0xfffe
	v_mul_f64_e32 v[203:204], s[24:25], v[16:17]
	v_mul_f64_e32 v[217:218], s[24:25], v[142:143]
	;; [unrolled: 1-line block ×5, first 2 shown]
	v_fma_f64 v[8:9], v[106:107], s[12:13], -v[104:105]
	s_delay_alu instid0(VALU_DEP_1) | instskip(NEXT) | instid1(VALU_DEP_1)
	v_add_f64_e32 v[8:9], v[54:55], v[8:9]
	v_add_f64_e32 v[8:9], v[10:11], v[8:9]
	v_mul_f64_e32 v[10:11], s[36:37], v[84:85]
	scratch_store_b64 off, v[10:11], off offset:232 ; 8-byte Folded Spill
	v_fma_f64 v[10:11], v[158:159], s[14:15], v[10:11]
	s_clause 0x3
	scratch_store_b64 off, v[18:19], off offset:160
	scratch_store_b64 off, v[92:93], off offset:176
	;; [unrolled: 1-line block ×4, first 2 shown]
	v_add_f64_e64 v[18:19], v[66:67], -v[78:79]
	v_mul_f64_e32 v[86:87], s[26:27], v[0:1]
	scratch_store_b64 off, v[94:95], off offset:200 ; 8-byte Folded Spill
	v_mul_f64_e32 v[94:95], s[24:25], v[172:173]
	v_add_f64_e32 v[2:3], v[10:11], v[2:3]
	v_mul_f64_e32 v[10:11], s[36:37], v[140:141]
	s_mov_b32 s37, 0x3fcea1e5
	v_mul_f64_e32 v[223:224], s[24:25], v[18:19]
	v_mul_f64_e32 v[231:232], s[30:31], v[18:19]
	s_mov_b32 s36, s34
	v_mul_f64_e32 v[176:177], s[40:41], v[18:19]
	s_wait_alu 0xfffe
	v_mul_f64_e32 v[239:240], s[36:37], v[172:173]
	v_mul_f64_e32 v[251:252], s[36:37], v[183:184]
	;; [unrolled: 1-line block ×5, first 2 shown]
	scratch_store_b64 off, v[10:11], off offset:240 ; 8-byte Folded Spill
	v_fma_f64 v[10:11], v[162:163], s[14:15], -v[10:11]
	s_delay_alu instid0(VALU_DEP_1)
	v_add_f64_e32 v[8:9], v[10:11], v[8:9]
	v_mul_f64_e32 v[10:11], s[26:27], v[142:143]
	scratch_store_b64 off, v[10:11], off offset:248 ; 8-byte Folded Spill
	v_fma_f64 v[10:11], v[166:167], s[18:19], v[10:11]
	s_clause 0x1
	scratch_store_b64 off, v[74:75], off offset:192
	scratch_store_b64 off, v[96:97], off offset:208
	v_mul_f64_e32 v[96:97], s[38:39], v[72:73]
	v_add_f64_e32 v[2:3], v[10:11], v[2:3]
	v_mul_f64_e32 v[10:11], s[26:27], v[164:165]
	s_delay_alu instid0(VALU_DEP_3) | instskip(SKIP_2) | instid1(VALU_DEP_1)
	v_fma_f64 v[58:59], v[154:155], s[14:15], -v[96:97]
	scratch_store_b64 off, v[10:11], off offset:256 ; 8-byte Folded Spill
	v_fma_f64 v[10:11], v[170:171], s[18:19], -v[10:11]
	v_add_f64_e32 v[8:9], v[10:11], v[8:9]
	v_mul_f64_e32 v[10:11], s[30:31], v[172:173]
	scratch_store_b64 off, v[10:11], off offset:264 ; 8-byte Folded Spill
	v_fma_f64 v[10:11], v[174:175], s[20:21], v[10:11]
	s_delay_alu instid0(VALU_DEP_1) | instskip(SKIP_3) | instid1(VALU_DEP_1)
	v_add_f64_e32 v[2:3], v[10:11], v[2:3]
	v_mul_f64_e32 v[10:11], s[30:31], v[183:184]
	scratch_store_b64 off, v[10:11], off offset:272 ; 8-byte Folded Spill
	v_fma_f64 v[10:11], v[181:182], s[20:21], -v[10:11]
	v_add_f64_e32 v[8:9], v[10:11], v[8:9]
	v_mul_f64_e32 v[10:11], s[34:35], v[16:17]
	scratch_store_b64 off, v[10:11], off offset:280 ; 8-byte Folded Spill
	v_fma_f64 v[10:11], v[185:186], s[22:23], v[10:11]
	s_delay_alu instid0(VALU_DEP_1)
	v_add_f64_e32 v[120:121], v[10:11], v[2:3]
	v_mul_f64_e32 v[2:3], s[34:35], v[18:19]
	v_fma_f64 v[10:11], v[154:155], s[18:19], -v[195:196]
	scratch_store_b64 off, v[2:3], off offset:288 ; 8-byte Folded Spill
	v_fma_f64 v[2:3], v[189:190], s[22:23], -v[2:3]
	global_wb scope:SCOPE_SE
	s_wait_storecnt 0x0
	s_barrier_signal -1
	s_barrier_wait -1
	global_inv scope:SCOPE_SE
	v_add_f64_e32 v[122:123], v[2:3], v[8:9]
	v_fma_f64 v[2:3], v[156:157], s[10:11], v[160:161]
	v_fma_f64 v[8:9], v[150:151], s[18:19], v[191:192]
	s_delay_alu instid0(VALU_DEP_2) | instskip(NEXT) | instid1(VALU_DEP_1)
	v_add_f64_e32 v[2:3], v[52:53], v[2:3]
	v_add_f64_e32 v[2:3], v[8:9], v[2:3]
	v_fma_f64 v[8:9], v[106:107], s[10:11], -v[168:169]
	s_delay_alu instid0(VALU_DEP_1) | instskip(NEXT) | instid1(VALU_DEP_1)
	v_add_f64_e32 v[8:9], v[54:55], v[8:9]
	v_add_f64_e32 v[8:9], v[10:11], v[8:9]
	v_fma_f64 v[10:11], v[158:159], s[22:23], v[193:194]
	s_delay_alu instid0(VALU_DEP_1) | instskip(SKIP_1) | instid1(VALU_DEP_1)
	v_add_f64_e32 v[2:3], v[10:11], v[2:3]
	v_fma_f64 v[10:11], v[162:163], s[22:23], -v[201:202]
	v_add_f64_e32 v[8:9], v[10:11], v[8:9]
	v_fma_f64 v[10:11], v[166:167], s[20:21], v[199:200]
	s_delay_alu instid0(VALU_DEP_1) | instskip(SKIP_1) | instid1(VALU_DEP_1)
	v_add_f64_e32 v[2:3], v[10:11], v[2:3]
	v_fma_f64 v[10:11], v[170:171], s[20:21], -v[207:208]
	;; [unrolled: 5-line block ×3, first 2 shown]
	v_add_f64_e32 v[8:9], v[10:11], v[8:9]
	v_fma_f64 v[10:11], v[185:186], s[12:13], v[203:204]
	s_delay_alu instid0(VALU_DEP_1) | instskip(SKIP_2) | instid1(VALU_DEP_2)
	v_add_f64_e32 v[124:125], v[10:11], v[2:3]
	v_fma_f64 v[2:3], v[189:190], s[12:13], -v[223:224]
	v_fma_f64 v[10:11], v[154:155], s[22:23], -v[213:214]
	v_add_f64_e32 v[126:127], v[2:3], v[8:9]
	v_fma_f64 v[2:3], v[156:157], s[14:15], v[187:188]
	v_fma_f64 v[8:9], v[150:151], s[22:23], v[197:198]
	s_delay_alu instid0(VALU_DEP_2) | instskip(NEXT) | instid1(VALU_DEP_1)
	v_add_f64_e32 v[2:3], v[52:53], v[2:3]
	v_add_f64_e32 v[2:3], v[8:9], v[2:3]
	v_fma_f64 v[8:9], v[106:107], s[14:15], -v[144:145]
	s_delay_alu instid0(VALU_DEP_1) | instskip(NEXT) | instid1(VALU_DEP_1)
	v_add_f64_e32 v[8:9], v[54:55], v[8:9]
	v_add_f64_e32 v[8:9], v[10:11], v[8:9]
	v_fma_f64 v[10:11], v[158:159], s[18:19], v[209:210]
	s_delay_alu instid0(VALU_DEP_1) | instskip(SKIP_1) | instid1(VALU_DEP_1)
	v_add_f64_e32 v[2:3], v[10:11], v[2:3]
	v_fma_f64 v[10:11], v[162:163], s[18:19], -v[225:226]
	v_add_f64_e32 v[8:9], v[10:11], v[8:9]
	v_fma_f64 v[10:11], v[166:167], s[12:13], v[217:218]
	s_delay_alu instid0(VALU_DEP_1) | instskip(SKIP_1) | instid1(VALU_DEP_1)
	v_add_f64_e32 v[2:3], v[10:11], v[2:3]
	v_fma_f64 v[10:11], v[170:171], s[12:13], -v[229:230]
	v_add_f64_e32 v[8:9], v[10:11], v[8:9]
	v_fma_f64 v[10:11], v[174:175], s[10:11], v[221:222]
	s_delay_alu instid0(VALU_DEP_1) | instskip(SKIP_1) | instid1(VALU_DEP_1)
	v_add_f64_e32 v[2:3], v[10:11], v[2:3]
	v_fma_f64 v[10:11], v[181:182], s[10:11], -v[235:236]
	v_add_f64_e32 v[8:9], v[10:11], v[8:9]
	v_fma_f64 v[10:11], v[185:186], s[20:21], v[211:212]
	s_delay_alu instid0(VALU_DEP_1) | instskip(SKIP_1) | instid1(VALU_DEP_1)
	v_add_f64_e32 v[128:129], v[10:11], v[2:3]
	v_fma_f64 v[2:3], v[189:190], s[20:21], -v[231:232]
	v_add_f64_e32 v[130:131], v[2:3], v[8:9]
	v_fma_f64 v[2:3], v[156:157], s[18:19], v[86:87]
	v_fma_f64 v[8:9], v[150:151], s[20:21], v[215:216]
	s_delay_alu instid0(VALU_DEP_2) | instskip(NEXT) | instid1(VALU_DEP_1)
	v_add_f64_e32 v[2:3], v[52:53], v[2:3]
	v_add_f64_e32 v[8:9], v[8:9], v[2:3]
	v_mul_f64_e32 v[2:3], s[26:27], v[6:7]
	s_delay_alu instid0(VALU_DEP_1) | instskip(NEXT) | instid1(VALU_DEP_1)
	v_fma_f64 v[10:11], v[106:107], s[18:19], -v[2:3]
	v_add_f64_e32 v[10:11], v[54:55], v[10:11]
	s_delay_alu instid0(VALU_DEP_1) | instskip(SKIP_1) | instid1(VALU_DEP_1)
	v_add_f64_e32 v[10:11], v[12:13], v[10:11]
	v_fma_f64 v[12:13], v[158:159], s[12:13], v[227:228]
	v_add_f64_e32 v[8:9], v[12:13], v[8:9]
	v_fma_f64 v[12:13], v[162:163], s[12:13], -v[243:244]
	s_delay_alu instid0(VALU_DEP_1) | instskip(SKIP_1) | instid1(VALU_DEP_1)
	v_add_f64_e32 v[10:11], v[12:13], v[10:11]
	v_fma_f64 v[12:13], v[166:167], s[14:15], v[233:234]
	v_add_f64_e32 v[8:9], v[12:13], v[8:9]
	v_fma_f64 v[12:13], v[170:171], s[14:15], -v[247:248]
	;; [unrolled: 5-line block ×4, first 2 shown]
	v_fma_f64 v[12:13], v[150:151], s[14:15], v[245:246]
	s_delay_alu instid0(VALU_DEP_2) | instskip(SKIP_1) | instid1(VALU_DEP_1)
	v_add_f64_e32 v[134:135], v[8:9], v[10:11]
	v_mul_f64_e32 v[8:9], s[30:31], v[0:1]
	v_fma_f64 v[10:11], v[156:157], s[20:21], v[8:9]
	s_delay_alu instid0(VALU_DEP_1) | instskip(NEXT) | instid1(VALU_DEP_1)
	v_add_f64_e32 v[10:11], v[52:53], v[10:11]
	v_add_f64_e32 v[12:13], v[12:13], v[10:11]
	v_mul_f64_e32 v[10:11], s[30:31], v[6:7]
	s_delay_alu instid0(VALU_DEP_1) | instskip(NEXT) | instid1(VALU_DEP_1)
	v_fma_f64 v[14:15], v[106:107], s[20:21], -v[10:11]
	v_add_f64_e32 v[14:15], v[54:55], v[14:15]
	s_delay_alu instid0(VALU_DEP_1) | instskip(SKIP_1) | instid1(VALU_DEP_1)
	v_add_f64_e32 v[14:15], v[58:59], v[14:15]
	v_fma_f64 v[58:59], v[158:159], s[10:11], v[249:250]
	v_add_f64_e32 v[12:13], v[58:59], v[12:13]
	v_fma_f64 v[58:59], v[162:163], s[10:11], -v[98:99]
	s_delay_alu instid0(VALU_DEP_1) | instskip(SKIP_1) | instid1(VALU_DEP_1)
	v_add_f64_e32 v[14:15], v[58:59], v[14:15]
	v_fma_f64 v[58:59], v[166:167], s[22:23], v[92:93]
	v_add_f64_e32 v[12:13], v[58:59], v[12:13]
	v_fma_f64 v[58:59], v[170:171], s[22:23], -v[100:101]
	s_delay_alu instid0(VALU_DEP_1) | instskip(SKIP_1) | instid1(VALU_DEP_1)
	v_add_f64_e32 v[14:15], v[58:59], v[14:15]
	v_fma_f64 v[58:59], v[174:175], s[12:13], v[94:95]
	v_add_f64_e32 v[12:13], v[58:59], v[12:13]
	v_mul_f64_e32 v[58:59], s[24:25], v[183:184]
	v_mul_f64_e32 v[183:184], s[26:27], v[183:184]
	s_delay_alu instid0(VALU_DEP_2) | instskip(NEXT) | instid1(VALU_DEP_1)
	v_fma_f64 v[74:75], v[181:182], s[12:13], -v[58:59]
	v_add_f64_e32 v[14:15], v[74:75], v[14:15]
	v_fma_f64 v[74:75], v[185:186], s[18:19], v[253:254]
	s_delay_alu instid0(VALU_DEP_1) | instskip(SKIP_2) | instid1(VALU_DEP_2)
	v_add_f64_e32 v[136:137], v[74:75], v[12:13]
	v_fma_f64 v[12:13], v[189:190], s[18:19], -v[102:103]
	v_mul_f64_e32 v[74:75], s[24:25], v[4:5]
	v_add_f64_e32 v[138:139], v[12:13], v[14:15]
	v_mul_f64_e32 v[12:13], s[34:35], v[0:1]
	s_delay_alu instid0(VALU_DEP_3) | instskip(SKIP_2) | instid1(VALU_DEP_4)
	v_fma_f64 v[4:5], v[150:151], s[12:13], v[74:75]
	v_mul_f64_e32 v[14:15], s[34:35], v[6:7]
	v_mul_f64_e32 v[6:7], s[24:25], v[72:73]
	v_fma_f64 v[0:1], v[156:157], s[22:23], v[12:13]
	s_delay_alu instid0(VALU_DEP_2) | instskip(NEXT) | instid1(VALU_DEP_2)
	v_fma_f64 v[72:73], v[154:155], s[12:13], -v[6:7]
	v_add_f64_e32 v[0:1], v[52:53], v[0:1]
	s_delay_alu instid0(VALU_DEP_1) | instskip(SKIP_1) | instid1(VALU_DEP_1)
	v_add_f64_e32 v[4:5], v[4:5], v[0:1]
	v_fma_f64 v[0:1], v[106:107], s[22:23], -v[14:15]
	v_add_f64_e32 v[0:1], v[54:55], v[0:1]
	s_delay_alu instid0(VALU_DEP_1) | instskip(SKIP_1) | instid1(VALU_DEP_1)
	v_add_f64_e32 v[72:73], v[72:73], v[0:1]
	v_mul_f64_e32 v[0:1], s[30:31], v[84:85]
	v_fma_f64 v[84:85], v[158:159], s[20:21], v[0:1]
	s_delay_alu instid0(VALU_DEP_1) | instskip(SKIP_1) | instid1(VALU_DEP_1)
	v_add_f64_e32 v[178:179], v[84:85], v[4:5]
	v_mul_f64_e32 v[4:5], s[30:31], v[140:141]
	v_fma_f64 v[84:85], v[162:163], s[20:21], -v[4:5]
	s_delay_alu instid0(VALU_DEP_1) | instskip(SKIP_1) | instid1(VALU_DEP_1)
	v_add_f64_e32 v[140:141], v[84:85], v[72:73]
	v_mul_f64_e32 v[84:85], s[40:41], v[142:143]
	v_fma_f64 v[72:73], v[166:167], s[10:11], v[84:85]
	s_delay_alu instid0(VALU_DEP_1) | instskip(SKIP_3) | instid1(VALU_DEP_3)
	v_add_f64_e32 v[142:143], v[72:73], v[178:179]
	v_mul_f64_e32 v[72:73], s[40:41], v[164:165]
	v_mul_f64_e32 v[178:179], s[26:27], v[172:173]
	;; [unrolled: 1-line block ×3, first 2 shown]
	v_fma_f64 v[164:165], v[170:171], s[10:11], -v[72:73]
	s_delay_alu instid0(VALU_DEP_1) | instskip(NEXT) | instid1(VALU_DEP_4)
	v_add_f64_e32 v[140:141], v[164:165], v[140:141]
	v_fma_f64 v[164:165], v[174:175], s[18:19], v[178:179]
	s_delay_alu instid0(VALU_DEP_1) | instskip(SKIP_1) | instid1(VALU_DEP_1)
	v_add_f64_e32 v[142:143], v[164:165], v[142:143]
	v_fma_f64 v[164:165], v[181:182], s[18:19], -v[183:184]
	v_add_f64_e32 v[20:21], v[164:165], v[140:141]
	v_mul_f64_e32 v[164:165], s[38:39], v[16:17]
	s_delay_alu instid0(VALU_DEP_1) | instskip(NEXT) | instid1(VALU_DEP_1)
	v_fma_f64 v[16:17], v[185:186], s[14:15], v[164:165]
	v_add_f64_e32 v[140:141], v[16:17], v[142:143]
	v_fma_f64 v[16:17], v[189:190], s[14:15], -v[172:173]
	s_delay_alu instid0(VALU_DEP_1)
	v_add_f64_e32 v[142:143], v[16:17], v[20:21]
	s_and_saveexec_b32 s1, s0
	s_cbranch_execz .LBB0_11
; %bb.10:
	v_mul_f64_e32 v[16:17], s[22:23], v[106:107]
	v_mul_f64_e32 v[20:21], s[14:15], v[156:157]
	;; [unrolled: 1-line block ×3, first 2 shown]
	s_delay_alu instid0(VALU_DEP_3) | instskip(SKIP_1) | instid1(VALU_DEP_4)
	v_add_f64_e32 v[14:15], v[14:15], v[16:17]
	v_mul_f64_e32 v[16:17], s[22:23], v[156:157]
	v_add_f64_e64 v[20:21], v[20:21], -v[187:188]
	v_dual_mov_b32 v188, v23 :: v_dual_mov_b32 v187, v22
	v_mul_f64_e32 v[22:23], s[10:11], v[106:107]
	v_add_f64_e32 v[18:19], v[144:145], v[18:19]
	v_mul_f64_e32 v[144:145], s[20:21], v[156:157]
	v_add_f64_e32 v[14:15], v[54:55], v[14:15]
	v_add_f64_e64 v[12:13], v[16:17], -v[12:13]
	v_mul_f64_e32 v[16:17], s[20:21], v[106:107]
	v_add_f64_e32 v[20:21], v[52:53], v[20:21]
	v_add_f64_e32 v[22:23], v[168:169], v[22:23]
	v_add_f64_e64 v[8:9], v[144:145], -v[8:9]
	v_add_f64_e32 v[144:145], v[54:55], v[146:147]
	v_add_f64_e32 v[146:147], v[52:53], v[148:149]
	;; [unrolled: 1-line block ×4, first 2 shown]
	v_mul_f64_e32 v[16:17], s[18:19], v[106:107]
	v_mul_f64_e32 v[106:107], s[12:13], v[106:107]
	s_delay_alu instid0(VALU_DEP_3) | instskip(NEXT) | instid1(VALU_DEP_3)
	v_add_f64_e32 v[148:149], v[54:55], v[10:11]
	v_add_f64_e32 v[2:3], v[2:3], v[16:17]
	v_mul_f64_e32 v[16:17], s[18:19], v[156:157]
	s_delay_alu instid0(VALU_DEP_4)
	v_add_f64_e32 v[104:105], v[104:105], v[106:107]
	v_mul_f64_e32 v[106:107], s[12:13], v[156:157]
	v_add_f64_e32 v[10:11], v[54:55], v[18:19]
	v_add_f64_e32 v[18:19], v[54:55], v[22:23]
	v_add_f64_e64 v[16:17], v[16:17], -v[86:87]
	v_mul_f64_e32 v[86:87], s[10:11], v[156:157]
	v_add_f64_e64 v[106:107], v[106:107], -v[152:153]
	v_add_f64_e32 v[152:153], v[54:55], v[2:3]
	v_mul_f64_e32 v[2:3], s[12:13], v[154:155]
	v_add_f64_e32 v[104:105], v[54:55], v[104:105]
	v_mul_f64_e32 v[54:55], s[18:19], v[181:182]
	v_add_f64_e32 v[16:17], v[52:53], v[16:17]
	v_add_f64_e64 v[86:87], v[86:87], -v[160:161]
	v_add_f64_e32 v[106:107], v[52:53], v[106:107]
	v_add_f64_e32 v[2:3], v[6:7], v[2:3]
	v_mul_f64_e32 v[6:7], s[12:13], v[150:151]
	v_add_f64_e32 v[54:55], v[183:184], v[54:55]
	v_add_f64_e32 v[22:23], v[52:53], v[86:87]
	;; [unrolled: 1-line block ×3, first 2 shown]
	v_mul_f64_e32 v[8:9], s[20:21], v[162:163]
	v_mul_f64_e32 v[52:53], s[10:11], v[166:167]
	v_add_f64_e64 v[6:7], v[6:7], -v[74:75]
	v_add_f64_e32 v[2:3], v[2:3], v[14:15]
	v_mul_f64_e32 v[14:15], s[20:21], v[170:171]
	v_add_f64_e32 v[4:5], v[4:5], v[8:9]
	v_mul_f64_e32 v[8:9], s[20:21], v[158:159]
	v_add_f64_e32 v[6:7], v[6:7], v[12:13]
	v_add_f64_e64 v[52:53], v[52:53], -v[84:85]
	v_mul_f64_e32 v[12:13], s[18:19], v[174:175]
	v_add_f64_e32 v[14:15], v[207:208], v[14:15]
	scratch_load_b64 v[84:85], off, off offset:272 th:TH_LOAD_LU ; 8-byte Folded Reload
	v_add_f64_e32 v[2:3], v[4:5], v[2:3]
	v_add_f64_e64 v[0:1], v[8:9], -v[0:1]
	v_mul_f64_e32 v[8:9], s[10:11], v[170:171]
	v_mul_f64_e32 v[4:5], s[14:15], v[189:190]
	v_add_f64_e64 v[12:13], v[12:13], -v[178:179]
	s_delay_alu instid0(VALU_DEP_4) | instskip(NEXT) | instid1(VALU_DEP_4)
	v_add_f64_e32 v[0:1], v[0:1], v[6:7]
	v_add_f64_e32 v[8:9], v[72:73], v[8:9]
	v_mul_f64_e32 v[6:7], s[14:15], v[185:186]
	v_add_f64_e32 v[4:5], v[172:173], v[4:5]
	v_mul_f64_e32 v[72:73], s[12:13], v[181:182]
	v_add_f64_e32 v[0:1], v[52:53], v[0:1]
	v_add_f64_e32 v[2:3], v[8:9], v[2:3]
	v_add_f64_e64 v[6:7], v[6:7], -v[164:165]
	v_mul_f64_e32 v[8:9], s[22:23], v[162:163]
	v_mul_f64_e32 v[52:53], s[20:21], v[166:167]
	v_add_f64_e32 v[58:59], v[58:59], v[72:73]
	v_mul_f64_e32 v[72:73], s[12:13], v[174:175]
	v_add_f64_e32 v[0:1], v[12:13], v[0:1]
	v_add_f64_e32 v[2:3], v[54:55], v[2:3]
	v_mul_f64_e32 v[12:13], s[22:23], v[158:159]
	v_add_f64_e32 v[8:9], v[201:202], v[8:9]
	v_add_f64_e64 v[52:53], v[52:53], -v[199:200]
	v_mul_f64_e32 v[54:55], s[14:15], v[181:182]
	v_add_f64_e64 v[72:73], v[72:73], -v[94:95]
	v_add_f64_e32 v[0:1], v[6:7], v[0:1]
	v_add_f64_e32 v[2:3], v[4:5], v[2:3]
	v_mul_f64_e32 v[4:5], s[18:19], v[154:155]
	v_mul_f64_e32 v[6:7], s[18:19], v[150:151]
	v_add_f64_e64 v[12:13], v[12:13], -v[193:194]
	v_add_f64_e32 v[54:55], v[219:220], v[54:55]
	s_delay_alu instid0(VALU_DEP_4) | instskip(NEXT) | instid1(VALU_DEP_4)
	v_add_f64_e32 v[4:5], v[195:196], v[4:5]
	v_add_f64_e64 v[6:7], v[6:7], -v[191:192]
	s_delay_alu instid0(VALU_DEP_2) | instskip(NEXT) | instid1(VALU_DEP_2)
	v_add_f64_e32 v[4:5], v[4:5], v[18:19]
	v_add_f64_e32 v[6:7], v[6:7], v[22:23]
	v_mul_f64_e32 v[18:19], s[14:15], v[174:175]
	v_mul_f64_e32 v[22:23], s[12:13], v[170:171]
	s_delay_alu instid0(VALU_DEP_4) | instskip(NEXT) | instid1(VALU_DEP_4)
	v_add_f64_e32 v[4:5], v[8:9], v[4:5]
	v_add_f64_e32 v[6:7], v[12:13], v[6:7]
	s_delay_alu instid0(VALU_DEP_4)
	v_add_f64_e64 v[18:19], v[18:19], -v[205:206]
	v_mul_f64_e32 v[8:9], s[12:13], v[189:190]
	v_mul_f64_e32 v[12:13], s[12:13], v[185:186]
	v_add_f64_e32 v[22:23], v[229:230], v[22:23]
	v_add_f64_e32 v[4:5], v[14:15], v[4:5]
	;; [unrolled: 1-line block ×3, first 2 shown]
	v_mul_f64_e32 v[52:53], s[12:13], v[166:167]
	v_add_f64_e32 v[8:9], v[223:224], v[8:9]
	v_add_f64_e64 v[12:13], v[12:13], -v[203:204]
	v_add_f64_e32 v[4:5], v[54:55], v[4:5]
	v_add_f64_e32 v[14:15], v[18:19], v[6:7]
	v_mul_f64_e32 v[18:19], s[18:19], v[158:159]
	v_add_f64_e64 v[52:53], v[52:53], -v[217:218]
	v_mul_f64_e32 v[54:55], s[10:11], v[181:182]
	v_add_f64_e32 v[6:7], v[8:9], v[4:5]
	v_add_f64_e32 v[4:5], v[12:13], v[14:15]
	v_mul_f64_e32 v[8:9], s[22:23], v[154:155]
	v_mul_f64_e32 v[12:13], s[22:23], v[150:151]
	;; [unrolled: 1-line block ×3, first 2 shown]
	v_add_f64_e64 v[18:19], v[18:19], -v[209:210]
	v_add_f64_e32 v[54:55], v[235:236], v[54:55]
	v_add_f64_e32 v[8:9], v[213:214], v[8:9]
	v_add_f64_e64 v[12:13], v[12:13], -v[197:198]
	v_add_f64_e32 v[14:15], v[225:226], v[14:15]
	s_delay_alu instid0(VALU_DEP_3) | instskip(NEXT) | instid1(VALU_DEP_3)
	v_add_f64_e32 v[8:9], v[8:9], v[10:11]
	v_add_f64_e32 v[10:11], v[12:13], v[20:21]
	v_mul_f64_e32 v[12:13], s[10:11], v[174:175]
	v_mul_f64_e32 v[20:21], s[12:13], v[158:159]
	s_delay_alu instid0(VALU_DEP_4) | instskip(NEXT) | instid1(VALU_DEP_4)
	v_add_f64_e32 v[8:9], v[14:15], v[8:9]
	v_add_f64_e32 v[10:11], v[18:19], v[10:11]
	s_delay_alu instid0(VALU_DEP_4)
	v_add_f64_e64 v[12:13], v[12:13], -v[221:222]
	v_mul_f64_e32 v[14:15], s[20:21], v[189:190]
	v_mul_f64_e32 v[18:19], s[20:21], v[185:186]
	v_add_f64_e64 v[20:21], v[20:21], -v[227:228]
	v_add_f64_e32 v[8:9], v[22:23], v[8:9]
	v_add_f64_e32 v[10:11], v[52:53], v[10:11]
	v_mul_f64_e32 v[22:23], s[14:15], v[170:171]
	v_add_f64_e32 v[14:15], v[231:232], v[14:15]
	v_add_f64_e64 v[18:19], v[18:19], -v[211:212]
	v_mul_f64_e32 v[52:53], s[14:15], v[166:167]
	v_add_f64_e32 v[8:9], v[54:55], v[8:9]
	v_add_f64_e32 v[12:13], v[12:13], v[10:11]
	;; [unrolled: 1-line block ×3, first 2 shown]
	v_mul_f64_e32 v[54:55], s[22:23], v[181:182]
	v_add_f64_e64 v[52:53], v[52:53], -v[233:234]
	v_add_f64_e32 v[10:11], v[14:15], v[8:9]
	v_add_f64_e32 v[8:9], v[18:19], v[12:13]
	v_mul_f64_e32 v[12:13], s[20:21], v[154:155]
	v_mul_f64_e32 v[14:15], s[20:21], v[150:151]
	;; [unrolled: 1-line block ×3, first 2 shown]
	v_add_f64_e32 v[54:55], v[251:252], v[54:55]
	s_delay_alu instid0(VALU_DEP_4) | instskip(NEXT) | instid1(VALU_DEP_4)
	v_add_f64_e32 v[12:13], v[237:238], v[12:13]
	v_add_f64_e64 v[14:15], v[14:15], -v[215:216]
	s_delay_alu instid0(VALU_DEP_4) | instskip(NEXT) | instid1(VALU_DEP_3)
	v_add_f64_e32 v[18:19], v[243:244], v[18:19]
	v_add_f64_e32 v[12:13], v[12:13], v[152:153]
	s_delay_alu instid0(VALU_DEP_3) | instskip(SKIP_1) | instid1(VALU_DEP_3)
	v_add_f64_e32 v[14:15], v[14:15], v[16:17]
	v_mul_f64_e32 v[16:17], s[22:23], v[174:175]
	v_add_f64_e32 v[12:13], v[18:19], v[12:13]
	s_delay_alu instid0(VALU_DEP_3) | instskip(SKIP_1) | instid1(VALU_DEP_4)
	v_add_f64_e32 v[14:15], v[20:21], v[14:15]
	v_mul_f64_e32 v[18:19], s[10:11], v[189:190]
	v_add_f64_e64 v[16:17], v[16:17], -v[239:240]
	v_mul_f64_e32 v[20:21], s[10:11], v[185:186]
	v_add_f64_e32 v[12:13], v[22:23], v[12:13]
	v_add_f64_e32 v[14:15], v[52:53], v[14:15]
	;; [unrolled: 1-line block ×3, first 2 shown]
	v_mul_f64_e32 v[22:23], s[10:11], v[158:159]
	v_add_f64_e64 v[20:21], v[20:21], -v[241:242]
	v_mul_f64_e32 v[52:53], s[22:23], v[170:171]
	v_add_f64_e32 v[12:13], v[54:55], v[12:13]
	v_add_f64_e32 v[16:17], v[16:17], v[14:15]
	v_mul_f64_e32 v[54:55], s[22:23], v[166:167]
	v_add_f64_e64 v[22:23], v[22:23], -v[249:250]
	v_add_f64_e32 v[52:53], v[100:101], v[52:53]
	v_add_f64_e32 v[14:15], v[18:19], v[12:13]
	v_mul_f64_e32 v[18:19], s[14:15], v[150:151]
	v_add_f64_e32 v[12:13], v[20:21], v[16:17]
	v_mul_f64_e32 v[16:17], s[14:15], v[154:155]
	v_mul_f64_e32 v[20:21], s[10:11], v[162:163]
	v_add_f64_e64 v[54:55], v[54:55], -v[92:93]
	v_add_f64_e64 v[18:19], v[18:19], -v[245:246]
	s_delay_alu instid0(VALU_DEP_4) | instskip(NEXT) | instid1(VALU_DEP_4)
	v_add_f64_e32 v[16:17], v[96:97], v[16:17]
	v_add_f64_e32 v[20:21], v[98:99], v[20:21]
	s_delay_alu instid0(VALU_DEP_3) | instskip(SKIP_4) | instid1(VALU_DEP_3)
	v_add_f64_e32 v[18:19], v[18:19], v[86:87]
	scratch_load_b64 v[86:87], off, off offset:264 th:TH_LOAD_LU ; 8-byte Folded Reload
	v_add_f64_e32 v[16:17], v[16:17], v[148:149]
	v_add_f64_e32 v[18:19], v[22:23], v[18:19]
	v_mul_f64_e32 v[22:23], s[18:19], v[185:186]
	v_add_f64_e32 v[16:17], v[20:21], v[16:17]
	v_mul_f64_e32 v[20:21], s[18:19], v[189:190]
	s_delay_alu instid0(VALU_DEP_4) | instskip(NEXT) | instid1(VALU_DEP_4)
	v_add_f64_e32 v[18:19], v[54:55], v[18:19]
	v_add_f64_e64 v[22:23], v[22:23], -v[253:254]
	s_delay_alu instid0(VALU_DEP_4) | instskip(NEXT) | instid1(VALU_DEP_4)
	v_add_f64_e32 v[16:17], v[52:53], v[16:17]
	v_add_f64_e32 v[20:21], v[102:103], v[20:21]
	s_delay_alu instid0(VALU_DEP_4)
	v_add_f64_e32 v[18:19], v[72:73], v[18:19]
	scratch_load_b64 v[72:73], off, off offset:256 th:TH_LOAD_LU ; 8-byte Folded Reload
	v_add_f64_e32 v[16:17], v[58:59], v[16:17]
	scratch_load_b64 v[58:59], off, off offset:232 th:TH_LOAD_LU ; 8-byte Folded Reload
	;; [unrolled: 2-line block ×3, first 2 shown]
	v_add_f64_e32 v[54:55], v[20:21], v[16:17]
	s_clause 0x1
	scratch_load_b64 v[20:21], off, off offset:216 th:TH_LOAD_LU
	scratch_load_b64 v[22:23], off, off offset:240 th:TH_LOAD_LU
	v_mul_f64_e32 v[16:17], s[10:11], v[154:155]
	s_wait_loadcnt 0x2
	s_delay_alu instid0(VALU_DEP_1) | instskip(SKIP_1) | instid1(VALU_DEP_2)
	v_add_f64_e32 v[16:17], v[18:19], v[16:17]
	v_mul_f64_e32 v[18:19], s[10:11], v[150:151]
	v_add_f64_e32 v[16:17], v[16:17], v[104:105]
	s_wait_loadcnt 0x1
	s_delay_alu instid0(VALU_DEP_2) | instskip(SKIP_1) | instid1(VALU_DEP_2)
	v_add_f64_e64 v[18:19], v[18:19], -v[20:21]
	v_mul_f64_e32 v[20:21], s[14:15], v[162:163]
	v_add_f64_e32 v[18:19], v[18:19], v[106:107]
	s_wait_loadcnt 0x0
	s_delay_alu instid0(VALU_DEP_2) | instskip(SKIP_1) | instid1(VALU_DEP_2)
	v_add_f64_e32 v[20:21], v[22:23], v[20:21]
	v_mul_f64_e32 v[22:23], s[14:15], v[158:159]
	v_add_f64_e32 v[16:17], v[20:21], v[16:17]
	s_delay_alu instid0(VALU_DEP_2) | instskip(SKIP_2) | instid1(VALU_DEP_3)
	v_add_f64_e64 v[22:23], v[22:23], -v[58:59]
	v_mul_f64_e32 v[58:59], s[18:19], v[170:171]
	v_mul_f64_e32 v[20:21], s[22:23], v[189:190]
	v_add_f64_e32 v[18:19], v[22:23], v[18:19]
	s_clause 0x1
	scratch_load_b64 v[22:23], off, off offset:288 th:TH_LOAD_LU
	scratch_load_b64 v[74:75], off, off offset:248 th:TH_LOAD_LU
	v_add_f64_e32 v[58:59], v[72:73], v[58:59]
	v_mul_f64_e32 v[72:73], s[18:19], v[166:167]
	s_delay_alu instid0(VALU_DEP_2)
	v_add_f64_e32 v[16:17], v[58:59], v[16:17]
	scratch_load_b64 v[58:59], off, off offset:280 th:TH_LOAD_LU ; 8-byte Folded Reload
	s_wait_loadcnt 0x2
	v_add_f64_e32 v[20:21], v[22:23], v[20:21]
	s_wait_loadcnt 0x1
	v_add_f64_e64 v[72:73], v[72:73], -v[74:75]
	v_mul_f64_e32 v[74:75], s[20:21], v[181:182]
	v_mul_f64_e32 v[22:23], s[22:23], v[185:186]
	s_delay_alu instid0(VALU_DEP_3) | instskip(NEXT) | instid1(VALU_DEP_3)
	v_add_f64_e32 v[18:19], v[72:73], v[18:19]
	v_add_f64_e32 v[74:75], v[84:85], v[74:75]
	v_mul_f64_e32 v[84:85], s[20:21], v[174:175]
	s_wait_loadcnt 0x0
	s_delay_alu instid0(VALU_DEP_4) | instskip(NEXT) | instid1(VALU_DEP_3)
	v_add_f64_e64 v[22:23], v[22:23], -v[58:59]
	v_add_f64_e32 v[16:17], v[74:75], v[16:17]
	s_delay_alu instid0(VALU_DEP_1) | instskip(SKIP_4) | instid1(VALU_DEP_1)
	v_add_f64_e32 v[74:75], v[20:21], v[16:17]
	s_clause 0x1
	scratch_load_b64 v[16:17], off, off offset:152 th:TH_LOAD_LU
	scratch_load_b64 v[20:21], off, off offset:168 th:TH_LOAD_LU
	v_add_f64_e64 v[84:85], v[84:85], -v[86:87]
	v_add_f64_e32 v[18:19], v[84:85], v[18:19]
	s_delay_alu instid0(VALU_DEP_1) | instskip(SKIP_4) | instid1(VALU_DEP_1)
	v_add_f64_e32 v[72:73], v[22:23], v[18:19]
	scratch_load_b64 v[18:19], off, off offset:144 th:TH_LOAD_LU ; 8-byte Folded Reload
	s_wait_loadcnt 0x2
	v_add_f64_e32 v[16:17], v[144:145], v[16:17]
	s_wait_loadcnt 0x1
	v_add_f64_e32 v[16:17], v[16:17], v[20:21]
	scratch_load_b64 v[20:21], off, off offset:160 th:TH_LOAD_LU ; 8-byte Folded Reload
	s_wait_loadcnt 0x1
	v_add_f64_e32 v[18:19], v[146:147], v[18:19]
	s_wait_loadcnt 0x0
	s_delay_alu instid0(VALU_DEP_1)
	v_add_f64_e32 v[18:19], v[18:19], v[20:21]
	scratch_load_b64 v[20:21], off, off offset:208 th:TH_LOAD_LU ; 8-byte Folded Reload
	s_wait_loadcnt 0x0
	v_add_f64_e32 v[16:17], v[16:17], v[20:21]
	scratch_load_b64 v[20:21], off, off offset:200 th:TH_LOAD_LU ; 8-byte Folded Reload
	v_add_f64_e32 v[16:17], v[16:17], v[82:83]
	s_delay_alu instid0(VALU_DEP_1) | instskip(NEXT) | instid1(VALU_DEP_1)
	v_add_f64_e32 v[16:17], v[16:17], v[68:69]
	v_add_f64_e32 v[16:17], v[16:17], v[56:57]
	s_delay_alu instid0(VALU_DEP_1) | instskip(SKIP_4) | instid1(VALU_DEP_1)
	v_add_f64_e32 v[16:17], v[16:17], v[70:71]
	s_wait_loadcnt 0x0
	v_add_f64_e32 v[18:19], v[18:19], v[20:21]
	scratch_load_b64 v[20:21], off, off offset:192 th:TH_LOAD_LU ; 8-byte Folded Reload
	v_add_f64_e32 v[18:19], v[18:19], v[64:65]
	v_add_f64_e32 v[18:19], v[18:19], v[66:67]
	s_delay_alu instid0(VALU_DEP_1) | instskip(NEXT) | instid1(VALU_DEP_1)
	v_add_f64_e32 v[18:19], v[18:19], v[78:79]
	v_add_f64_e32 v[18:19], v[18:19], v[76:77]
	s_delay_alu instid0(VALU_DEP_1)
	v_add_f64_e32 v[18:19], v[18:19], v[80:81]
	s_wait_loadcnt 0x0
	v_add_f64_e32 v[16:17], v[16:17], v[20:21]
	scratch_load_b64 v[20:21], off, off offset:184 th:TH_LOAD_LU ; 8-byte Folded Reload
	s_wait_loadcnt 0x0
	v_add_f64_e32 v[16:17], v[16:17], v[20:21]
	scratch_load_b64 v[20:21], off, off offset:176 th:TH_LOAD_LU ; 8-byte Folded Reload
	;; [unrolled: 3-line block ×4, first 2 shown]
	v_add_f64_e32 v[58:59], v[16:17], v[187:188]
	scratch_load_b64 v[16:17], off, off offset:120 th:TH_LOAD_LU ; 8-byte Folded Reload
	s_wait_loadcnt 0x1
	v_add_f64_e32 v[18:19], v[18:19], v[20:21]
	s_wait_loadcnt 0x0
	s_delay_alu instid0(VALU_DEP_1) | instskip(SKIP_2) | instid1(VALU_DEP_2)
	v_add_f64_e32 v[56:57], v[18:19], v[16:17]
	v_lshrrev_b32_e32 v16, 1, v180
	v_and_b32_e32 v17, 1, v180
	v_mul_u32_u24_e32 v16, 26, v16
	s_delay_alu instid0(VALU_DEP_1) | instskip(NEXT) | instid1(VALU_DEP_1)
	v_or_b32_e32 v16, v16, v17
	v_lshlrev_b32_e32 v16, 4, v16
	ds_store_b128 v16, v[4:7] offset:64
	ds_store_b128 v16, v[8:11] offset:96
	;; [unrolled: 1-line block ×11, first 2 shown]
	ds_store_b128 v16, v[56:59]
	ds_store_b128 v16, v[120:123] offset:384
.LBB0_11:
	s_wait_alu 0xfffe
	s_or_b32 exec_lo, exec_lo, s1
	v_and_b32_e32 v0, 0xff, v180
	global_wb scope:SCOPE_SE
	s_wait_dscnt 0x0
	s_barrier_signal -1
	s_barrier_wait -1
	global_inv scope:SCOPE_SE
	v_mul_lo_u16 v0, 0x4f, v0
	s_mov_b32 s12, 0x37e14327
	s_mov_b32 s14, 0xe976ee23
	;; [unrolled: 1-line block ×4, first 2 shown]
	v_lshrrev_b16 v148, 11, v0
	s_mov_b32 s10, 0x429ad128
	s_mov_b32 s11, 0x3febfeb5
	;; [unrolled: 1-line block ×4, first 2 shown]
	v_mul_lo_u16 v0, v148, 26
	s_mov_b32 s20, 0xaaaaaaaa
	s_mov_b32 s26, 0xb247c609
	;; [unrolled: 1-line block ×4, first 2 shown]
	v_sub_nc_u16 v0, v180, v0
	s_mov_b32 s27, 0x3fd5d0dc
	s_mov_b32 s23, 0x3fe77f67
	;; [unrolled: 1-line block ×4, first 2 shown]
	v_and_b32_e32 v149, 0xff, v0
	s_wait_alu 0xfffe
	s_mov_b32 s24, s22
	s_mov_b32 s28, s26
	;; [unrolled: 1-line block ×4, first 2 shown]
	v_mad_co_u64_u32 v[0:1], null, 0x60, v149, s[2:3]
	s_clause 0x5
	global_load_b128 v[56:59], v[0:1], off offset:384
	global_load_b128 v[52:55], v[0:1], off offset:400
	;; [unrolled: 1-line block ×6, first 2 shown]
	ds_load_b128 v[0:3], v255 offset:2912
	ds_load_b128 v[4:7], v255 offset:5824
	;; [unrolled: 1-line block ×6, first 2 shown]
	s_wait_loadcnt_dscnt 0x505
	v_mul_f64_e32 v[16:17], v[2:3], v[58:59]
	v_mul_f64_e32 v[18:19], v[0:1], v[58:59]
	s_wait_loadcnt_dscnt 0x404
	v_mul_f64_e32 v[20:21], v[6:7], v[54:55]
	v_mul_f64_e32 v[22:23], v[4:5], v[54:55]
	;; [unrolled: 3-line block ×6, first 2 shown]
	v_fma_f64 v[0:1], v[0:1], v[56:57], -v[16:17]
	v_fma_f64 v[2:3], v[2:3], v[56:57], v[18:19]
	v_fma_f64 v[4:5], v[4:5], v[52:53], -v[20:21]
	v_fma_f64 v[6:7], v[6:7], v[52:53], v[22:23]
	;; [unrolled: 2-line block ×6, first 2 shown]
	v_add_f64_e32 v[80:81], v[0:1], v[8:9]
	v_add_f64_e32 v[82:83], v[2:3], v[10:11]
	;; [unrolled: 1-line block ×4, first 2 shown]
	v_add_f64_e64 v[4:5], v[4:5], -v[12:13]
	v_add_f64_e64 v[6:7], v[6:7], -v[14:15]
	v_add_f64_e32 v[12:13], v[16:17], v[20:21]
	v_add_f64_e32 v[14:15], v[18:19], v[22:23]
	v_add_f64_e64 v[16:17], v[20:21], -v[16:17]
	v_add_f64_e64 v[18:19], v[22:23], -v[18:19]
	;; [unrolled: 1-line block ×4, first 2 shown]
	v_add_f64_e32 v[0:1], v[84:85], v[80:81]
	v_add_f64_e32 v[2:3], v[86:87], v[82:83]
	v_add_f64_e64 v[20:21], v[80:81], -v[12:13]
	v_add_f64_e64 v[22:23], v[82:83], -v[14:15]
	;; [unrolled: 1-line block ×6, first 2 shown]
	v_add_f64_e32 v[104:105], v[16:17], v[4:5]
	v_add_f64_e32 v[106:107], v[18:19], v[6:7]
	v_add_f64_e64 v[16:17], v[8:9], -v[16:17]
	v_add_f64_e64 v[18:19], v[10:11], -v[18:19]
	v_add_f64_e32 v[100:101], v[12:13], v[0:1]
	v_add_f64_e32 v[102:103], v[14:15], v[2:3]
	v_add_f64_e64 v[12:13], v[12:13], -v[84:85]
	v_add_f64_e64 v[14:15], v[14:15], -v[86:87]
	ds_load_b128 v[0:3], v255
	v_mul_f64_e32 v[20:21], s[12:13], v[20:21]
	v_mul_f64_e32 v[22:23], s[12:13], v[22:23]
	;; [unrolled: 1-line block ×6, first 2 shown]
	v_add_f64_e32 v[8:9], v[104:105], v[8:9]
	v_add_f64_e32 v[10:11], v[106:107], v[10:11]
	global_wb scope:SCOPE_SE
	s_wait_dscnt 0x0
	s_barrier_signal -1
	s_barrier_wait -1
	global_inv scope:SCOPE_SE
	v_add_f64_e32 v[4:5], v[0:1], v[100:101]
	v_add_f64_e32 v[6:7], v[2:3], v[102:103]
	v_add_f64_e64 v[0:1], v[84:85], -v[80:81]
	v_add_f64_e64 v[2:3], v[86:87], -v[82:83]
	v_mul_f64_e32 v[80:81], s[18:19], v[12:13]
	v_mul_f64_e32 v[82:83], s[18:19], v[14:15]
	v_fma_f64 v[12:13], v[12:13], s[18:19], v[20:21]
	v_fma_f64 v[14:15], v[14:15], s[18:19], v[22:23]
	;; [unrolled: 1-line block ×4, first 2 shown]
	v_fma_f64 v[92:93], v[96:97], s[10:11], -v[92:93]
	v_fma_f64 v[94:95], v[98:99], s[10:11], -v[94:95]
	s_wait_alu 0xfffe
	v_fma_f64 v[16:17], v[16:17], s[28:29], -v[144:145]
	v_fma_f64 v[18:19], v[18:19], s[28:29], -v[146:147]
	v_fma_f64 v[96:97], v[100:101], s[20:21], v[4:5]
	v_fma_f64 v[98:99], v[102:103], s[20:21], v[6:7]
	v_fma_f64 v[20:21], v[0:1], s[24:25], -v[20:21]
	v_fma_f64 v[22:23], v[2:3], s[24:25], -v[22:23]
	;; [unrolled: 1-line block ×4, first 2 shown]
	v_fma_f64 v[100:101], v[8:9], s[30:31], v[84:85]
	v_fma_f64 v[102:103], v[10:11], s[30:31], v[86:87]
	;; [unrolled: 1-line block ×6, first 2 shown]
	v_add_f64_e32 v[104:105], v[12:13], v[96:97]
	v_add_f64_e32 v[106:107], v[14:15], v[98:99]
	;; [unrolled: 1-line block ×7, first 2 shown]
	v_add_f64_e64 v[10:11], v[106:107], -v[100:101]
	v_add_f64_e32 v[12:13], v[18:19], v[20:21]
	v_add_f64_e64 v[14:15], v[22:23], -v[16:17]
	v_add_f64_e64 v[80:81], v[0:1], -v[84:85]
	v_add_f64_e32 v[82:83], v[86:87], v[2:3]
	v_add_f64_e32 v[84:85], v[84:85], v[0:1]
	v_add_f64_e64 v[86:87], v[2:3], -v[86:87]
	v_add_f64_e64 v[92:93], v[20:21], -v[18:19]
	v_add_f64_e32 v[94:95], v[16:17], v[22:23]
	v_add_f64_e64 v[96:97], v[104:105], -v[102:103]
	v_add_f64_e32 v[98:99], v[100:101], v[106:107]
	v_and_b32_e32 v0, 0xffff, v148
	v_mad_co_u64_u32 v[1:2], null, 0x60, v180, s[2:3]
	s_add_nc_u64 s[2:3], s[16:17], 0x4fa0
	s_delay_alu instid0(VALU_DEP_2) | instskip(NEXT) | instid1(VALU_DEP_1)
	v_mul_u32_u24_e32 v0, 0xb6, v0
	v_add_lshl_u32 v0, v0, v149, 4
	ds_store_b128 v0, v[4:7]
	ds_store_b128 v0, v[8:11] offset:416
	ds_store_b128 v0, v[12:15] offset:832
	ds_store_b128 v0, v[80:83] offset:1248
	ds_store_b128 v0, v[84:87] offset:1664
	ds_store_b128 v0, v[92:95] offset:2080
	ds_store_b128 v0, v[96:99] offset:2496
	global_wb scope:SCOPE_SE
	s_wait_dscnt 0x0
	s_barrier_signal -1
	s_barrier_wait -1
	global_inv scope:SCOPE_SE
	s_clause 0x5
	global_load_b128 v[84:87], v[1:2], off offset:2880
	global_load_b128 v[80:83], v[1:2], off offset:2896
	global_load_b128 v[92:95], v[1:2], off offset:2960
	global_load_b128 v[104:107], v[1:2], off offset:2944
	global_load_b128 v[100:103], v[1:2], off offset:2912
	global_load_b128 v[96:99], v[1:2], off offset:2928
	ds_load_b128 v[1:4], v255 offset:2912
	ds_load_b128 v[5:8], v255 offset:5824
	;; [unrolled: 1-line block ×6, first 2 shown]
	s_wait_loadcnt_dscnt 0x505
	v_mul_f64_e32 v[13:14], v[3:4], v[86:87]
	v_mul_f64_e32 v[15:16], v[1:2], v[86:87]
	s_wait_loadcnt_dscnt 0x404
	v_mul_f64_e32 v[17:18], v[7:8], v[82:83]
	v_mul_f64_e32 v[19:20], v[5:6], v[82:83]
	;; [unrolled: 3-line block ×6, first 2 shown]
	v_fma_f64 v[1:2], v[1:2], v[84:85], -v[13:14]
	v_fma_f64 v[3:4], v[3:4], v[84:85], v[15:16]
	v_fma_f64 v[5:6], v[5:6], v[80:81], -v[17:18]
	v_fma_f64 v[7:8], v[7:8], v[80:81], v[19:20]
	;; [unrolled: 2-line block ×6, first 2 shown]
	v_add_f64_e32 v[146:147], v[1:2], v[9:10]
	v_add_f64_e32 v[148:149], v[3:4], v[11:12]
	;; [unrolled: 1-line block ×4, first 2 shown]
	v_add_f64_e64 v[5:6], v[5:6], -v[13:14]
	v_add_f64_e64 v[7:8], v[7:8], -v[15:16]
	v_add_f64_e32 v[13:14], v[17:18], v[21:22]
	v_add_f64_e32 v[15:16], v[19:20], v[144:145]
	v_add_f64_e64 v[17:18], v[21:22], -v[17:18]
	v_add_f64_e64 v[19:20], v[144:145], -v[19:20]
	;; [unrolled: 1-line block ×4, first 2 shown]
	v_add_f64_e32 v[1:2], v[150:151], v[146:147]
	v_add_f64_e32 v[3:4], v[152:153], v[148:149]
	v_add_f64_e64 v[21:22], v[146:147], -v[13:14]
	v_add_f64_e64 v[144:145], v[148:149], -v[15:16]
	;; [unrolled: 1-line block ×6, first 2 shown]
	v_add_f64_e32 v[5:6], v[17:18], v[5:6]
	v_add_f64_e32 v[7:8], v[19:20], v[7:8]
	v_add_f64_e64 v[17:18], v[9:10], -v[17:18]
	v_add_f64_e64 v[19:20], v[11:12], -v[19:20]
	;; [unrolled: 1-line block ×4, first 2 shown]
	v_add_f64_e32 v[162:163], v[13:14], v[1:2]
	v_add_f64_e32 v[164:165], v[15:16], v[3:4]
	v_add_f64_e64 v[13:14], v[13:14], -v[150:151]
	v_add_f64_e64 v[15:16], v[15:16], -v[152:153]
	ds_load_b128 v[1:4], v255
	v_mul_f64_e32 v[21:22], s[12:13], v[21:22]
	v_mul_f64_e32 v[144:145], s[12:13], v[144:145]
	;; [unrolled: 1-line block ×6, first 2 shown]
	v_add_f64_e32 v[5:6], v[5:6], v[9:10]
	v_add_f64_e32 v[7:8], v[7:8], v[11:12]
	s_wait_dscnt 0x0
	v_add_f64_e32 v[1:2], v[1:2], v[162:163]
	v_add_f64_e32 v[3:4], v[3:4], v[164:165]
	v_mul_f64_e32 v[150:151], s[18:19], v[13:14]
	v_mul_f64_e32 v[152:153], s[18:19], v[15:16]
	v_fma_f64 v[9:10], v[13:14], s[18:19], v[21:22]
	v_fma_f64 v[11:12], v[15:16], s[18:19], v[144:145]
	;; [unrolled: 1-line block ×4, first 2 shown]
	v_fma_f64 v[154:155], v[158:159], s[10:11], -v[154:155]
	v_fma_f64 v[156:157], v[160:161], s[10:11], -v[156:157]
	;; [unrolled: 1-line block ×6, first 2 shown]
	v_fma_f64 v[158:159], v[162:163], s[20:21], v[1:2]
	v_fma_f64 v[160:161], v[164:165], s[20:21], v[3:4]
	v_fma_f64 v[146:147], v[146:147], s[22:23], -v[150:151]
	v_fma_f64 v[148:149], v[148:149], s[22:23], -v[152:153]
	v_fma_f64 v[13:14], v[5:6], s[30:31], v[13:14]
	v_fma_f64 v[15:16], v[7:8], s[30:31], v[15:16]
	;; [unrolled: 1-line block ×6, first 2 shown]
	v_add_f64_e32 v[162:163], v[9:10], v[158:159]
	v_add_f64_e32 v[164:165], v[11:12], v[160:161]
	;; [unrolled: 1-line block ×7, first 2 shown]
	v_add_f64_e64 v[7:8], v[164:165], -v[13:14]
	v_add_f64_e32 v[9:10], v[19:20], v[21:22]
	v_add_f64_e64 v[11:12], v[144:145], -v[17:18]
	v_add_f64_e64 v[148:149], v[146:147], -v[152:153]
	v_add_f64_e32 v[150:151], v[154:155], v[156:157]
	v_add_f64_e32 v[152:153], v[152:153], v[146:147]
	v_add_f64_e64 v[154:155], v[156:157], -v[154:155]
	v_add_f64_e64 v[156:157], v[21:22], -v[19:20]
	v_add_f64_e32 v[158:159], v[17:18], v[144:145]
	v_add_f64_e64 v[144:145], v[162:163], -v[15:16]
	v_add_f64_e32 v[146:147], v[13:14], v[164:165]
	ds_store_b128 v255, v[1:4]
	ds_store_b128 v255, v[5:8] offset:2912
	ds_store_b128 v255, v[9:12] offset:5824
	;; [unrolled: 1-line block ×6, first 2 shown]
	global_wb scope:SCOPE_SE
	s_wait_dscnt 0x0
	s_barrier_signal -1
	s_barrier_wait -1
	global_inv scope:SCOPE_SE
	scratch_load_b64 v[1:2], off, off       ; 8-byte Folded Reload
	s_wait_loadcnt 0x0
	s_clause 0x5
	global_load_b128 v[1:4], v[1:2], off offset:20384
	global_load_b128 v[5:8], v255, s[2:3] offset:10192
	global_load_b128 v[9:12], v255, s[2:3] offset:2912
	;; [unrolled: 1-line block ×5, first 2 shown]
	ds_load_b128 v[160:163], v255
	ds_load_b128 v[164:167], v255 offset:10192
	ds_load_b128 v[168:171], v255 offset:2912
	;; [unrolled: 1-line block ×5, first 2 shown]
	s_wait_loadcnt_dscnt 0x505
	v_mul_f64_e32 v[13:14], v[162:163], v[3:4]
	v_mul_f64_e32 v[3:4], v[160:161], v[3:4]
	s_wait_loadcnt_dscnt 0x404
	v_mul_f64_e32 v[15:16], v[166:167], v[7:8]
	v_mul_f64_e32 v[7:8], v[164:165], v[7:8]
	;; [unrolled: 3-line block ×6, first 2 shown]
	v_fma_f64 v[11:12], v[160:161], v[1:2], -v[13:14]
	v_fma_f64 v[13:14], v[162:163], v[1:2], v[3:4]
	v_fma_f64 v[1:2], v[164:165], v[5:6], -v[15:16]
	v_fma_f64 v[3:4], v[166:167], v[5:6], v[7:8]
	v_fma_f64 v[5:6], v[168:169], v[9:10], -v[17:18]
	v_fma_f64 v[7:8], v[170:171], v[9:10], v[19:20]
	v_fma_f64 v[158:159], v[172:173], v[148:149], -v[21:22]
	v_fma_f64 v[160:161], v[174:175], v[148:149], v[150:151]
	v_fma_f64 v[148:149], v[176:177], v[152:153], -v[185:186]
	v_fma_f64 v[150:151], v[178:179], v[152:153], v[154:155]
	v_fma_f64 v[152:153], v[181:182], v[156:157], -v[187:188]
	v_fma_f64 v[154:155], v[183:184], v[156:157], v[189:190]
	ds_store_b128 v255, v[11:14]
	ds_store_b128 v255, v[5:8] offset:2912
	ds_store_b128 v255, v[1:4] offset:10192
	;; [unrolled: 1-line block ×5, first 2 shown]
	s_and_saveexec_b32 s1, vcc_lo
	s_cbranch_execz .LBB0_13
; %bb.12:
	s_wait_alu 0xfffe
	v_add_co_u32 v5, s2, s2, v255
	s_wait_alu 0xf1ff
	v_add_co_ci_u32_e64 v6, null, s3, 0, s2
	s_clause 0x1
	global_load_b128 v[1:4], v[5:6], off offset:8736
	global_load_b128 v[5:8], v[5:6], off offset:18928
	ds_load_b128 v[9:12], v255 offset:8736
	ds_load_b128 v[148:151], v255 offset:18928
	s_wait_loadcnt_dscnt 0x101
	v_mul_f64_e32 v[13:14], v[11:12], v[3:4]
	v_mul_f64_e32 v[3:4], v[9:10], v[3:4]
	s_wait_loadcnt_dscnt 0x0
	v_mul_f64_e32 v[15:16], v[150:151], v[7:8]
	v_mul_f64_e32 v[17:18], v[148:149], v[7:8]
	s_delay_alu instid0(VALU_DEP_4) | instskip(NEXT) | instid1(VALU_DEP_4)
	v_fma_f64 v[7:8], v[9:10], v[1:2], -v[13:14]
	v_fma_f64 v[9:10], v[11:12], v[1:2], v[3:4]
	s_delay_alu instid0(VALU_DEP_4) | instskip(NEXT) | instid1(VALU_DEP_4)
	v_fma_f64 v[1:2], v[148:149], v[5:6], -v[15:16]
	v_fma_f64 v[3:4], v[150:151], v[5:6], v[17:18]
	ds_store_b128 v255, v[7:10] offset:8736
	ds_store_b128 v255, v[1:4] offset:18928
.LBB0_13:
	s_wait_alu 0xfffe
	s_or_b32 exec_lo, exec_lo, s1
	global_wb scope:SCOPE_SE
	s_wait_dscnt 0x0
	s_barrier_signal -1
	s_barrier_wait -1
	global_inv scope:SCOPE_SE
	ds_load_b128 v[156:159], v255
	ds_load_b128 v[160:163], v255 offset:2912
	ds_load_b128 v[148:151], v255 offset:10192
	;; [unrolled: 1-line block ×5, first 2 shown]
	v_lshlrev_b32_e32 v1, 5, v180
	s_delay_alu instid0(VALU_DEP_1)
	v_add_nc_u32_e32 v2, 0x16c0, v1
	v_add_nc_u32_e32 v1, 0x2d80, v1
	s_and_saveexec_b32 s1, vcc_lo
	s_cbranch_execz .LBB0_15
; %bb.14:
	ds_load_b128 v[144:147], v255 offset:8736
	ds_load_b128 v[140:143], v255 offset:18928
.LBB0_15:
	s_wait_alu 0xfffe
	s_or_b32 exec_lo, exec_lo, s1
	global_wb scope:SCOPE_SE
	s_wait_dscnt 0x0
	s_barrier_signal -1
	s_barrier_wait -1
	global_inv scope:SCOPE_SE
	scratch_load_b32 v3, off, off offset:116 th:TH_LOAD_LU ; 4-byte Folded Reload
	v_add_f64_e64 v[148:149], v[156:157], -v[148:149]
	v_add_f64_e64 v[150:151], v[158:159], -v[150:151]
	;; [unrolled: 1-line block ×8, first 2 shown]
	v_fma_f64 v[140:141], v[156:157], 2.0, -v[148:149]
	v_fma_f64 v[142:143], v[158:159], 2.0, -v[150:151]
	;; [unrolled: 1-line block ×8, first 2 shown]
	s_wait_loadcnt 0x0
	ds_store_b128 v3, v[140:143]
	ds_store_b128 v3, v[148:151] offset:16
	ds_store_b128 v2, v[156:159]
	ds_store_b128 v2, v[152:155] offset:16
	;; [unrolled: 2-line block ×3, first 2 shown]
	s_and_saveexec_b32 s1, vcc_lo
	s_cbranch_execz .LBB0_17
; %bb.16:
	scratch_load_b32 v1, off, off offset:112 th:TH_LOAD_LU ; 4-byte Folded Reload
	s_wait_loadcnt 0x0
	ds_store_b128 v1, v[144:147]
	ds_store_b128 v1, v[168:171] offset:16
.LBB0_17:
	s_wait_alu 0xfffe
	s_or_b32 exec_lo, exec_lo, s1
	global_wb scope:SCOPE_SE
	s_wait_dscnt 0x0
	s_barrier_signal -1
	s_barrier_wait -1
	global_inv scope:SCOPE_SE
	s_and_saveexec_b32 s1, s0
	s_cbranch_execz .LBB0_19
; %bb.18:
	ds_load_b128 v[140:143], v255
	ds_load_b128 v[148:151], v255 offset:1568
	ds_load_b128 v[156:159], v255 offset:3136
	;; [unrolled: 1-line block ×12, first 2 shown]
.LBB0_19:
	s_wait_alu 0xfffe
	s_or_b32 exec_lo, exec_lo, s1
	global_wb scope:SCOPE_SE
	s_wait_dscnt 0x0
	s_barrier_signal -1
	s_barrier_wait -1
	global_inv scope:SCOPE_SE
	s_and_saveexec_b32 s33, s0
	s_cbranch_execz .LBB0_21
; %bb.20:
	v_mul_f64_e32 v[1:2], v[114:115], v[146:147]
	s_mov_b32 s35, 0x3fddbe06
	s_mov_b32 s34, 0x4267c47c
	;; [unrolled: 1-line block ×14, first 2 shown]
	s_wait_alu 0xfffe
	s_mov_b32 s30, s26
	s_mov_b32 s28, s24
	;; [unrolled: 1-line block ×16, first 2 shown]
	s_delay_alu instid0(VALU_DEP_1) | instskip(SKIP_1) | instid1(VALU_DEP_1)
	v_fma_f64 v[172:173], v[112:113], v[144:145], v[1:2]
	v_mul_f64_e32 v[1:2], v[114:115], v[144:145]
	v_fma_f64 v[114:115], v[112:113], v[146:147], -v[1:2]
	v_mul_f64_e32 v[1:2], v[118:119], v[170:171]
	s_delay_alu instid0(VALU_DEP_1) | instskip(SKIP_1) | instid1(VALU_DEP_2)
	v_fma_f64 v[112:113], v[116:117], v[168:169], v[1:2]
	v_mul_f64_e32 v[1:2], v[118:119], v[168:169]
	v_add_f64_e32 v[221:222], v[172:173], v[112:113]
	s_delay_alu instid0(VALU_DEP_2) | instskip(SKIP_1) | instid1(VALU_DEP_2)
	v_fma_f64 v[116:117], v[116:117], v[170:171], -v[1:2]
	v_mul_f64_e32 v[1:2], v[90:91], v[166:167]
	v_add_f64_e32 v[217:218], v[114:115], v[116:117]
	s_delay_alu instid0(VALU_DEP_2) | instskip(SKIP_1) | instid1(VALU_DEP_1)
	v_fma_f64 v[118:119], v[88:89], v[164:165], v[1:2]
	v_mul_f64_e32 v[1:2], v[90:91], v[164:165]
	v_fma_f64 v[88:89], v[88:89], v[166:167], -v[1:2]
	v_mul_f64_e32 v[1:2], v[26:27], v[150:151]
	s_delay_alu instid0(VALU_DEP_1) | instskip(SKIP_1) | instid1(VALU_DEP_2)
	v_fma_f64 v[144:145], v[24:25], v[148:149], v[1:2]
	v_mul_f64_e32 v[1:2], v[26:27], v[148:149]
	v_add_f64_e32 v[193:194], v[140:141], v[144:145]
	s_delay_alu instid0(VALU_DEP_2) | instskip(SKIP_1) | instid1(VALU_DEP_1)
	v_fma_f64 v[146:147], v[24:25], v[150:151], -v[1:2]
	v_mul_f64_e32 v[1:2], v[110:111], v[138:139]
	v_fma_f64 v[24:25], v[108:109], v[136:137], v[1:2]
	v_mul_f64_e32 v[1:2], v[110:111], v[136:137]
	s_delay_alu instid0(VALU_DEP_2) | instskip(NEXT) | instid1(VALU_DEP_2)
	v_add_f64_e64 v[110:111], v[118:119], -v[24:25]
	v_fma_f64 v[26:27], v[108:109], v[138:139], -v[1:2]
	v_mul_f64_e32 v[1:2], v[50:51], v[162:163]
	v_add_f64_e32 v[215:216], v[118:119], v[24:25]
	s_delay_alu instid0(VALU_DEP_4) | instskip(NEXT) | instid1(VALU_DEP_4)
	v_mul_f64_e32 v[13:14], s[34:35], v[110:111]
	v_add_f64_e32 v[213:214], v[88:89], v[26:27]
	s_delay_alu instid0(VALU_DEP_4) | instskip(SKIP_4) | instid1(VALU_DEP_3)
	v_fma_f64 v[90:91], v[48:49], v[160:161], v[1:2]
	v_mul_f64_e32 v[1:2], v[50:51], v[160:161]
	v_mul_f64_e32 v[233:234], s[24:25], v[110:111]
	s_wait_alu 0xfffe
	v_mul_f64_e32 v[241:242], s[30:31], v[110:111]
	v_fma_f64 v[108:109], v[48:49], v[162:163], -v[1:2]
	v_mul_f64_e32 v[1:2], v[62:63], v[134:135]
	s_delay_alu instid0(VALU_DEP_1) | instskip(SKIP_1) | instid1(VALU_DEP_2)
	v_fma_f64 v[48:49], v[60:61], v[132:133], v[1:2]
	v_mul_f64_e32 v[1:2], v[62:63], v[132:133]
	v_add_f64_e32 v[211:212], v[90:91], v[48:49]
	s_delay_alu instid0(VALU_DEP_2) | instskip(SKIP_1) | instid1(VALU_DEP_2)
	v_fma_f64 v[50:51], v[60:61], v[134:135], -v[1:2]
	v_mul_f64_e32 v[1:2], v[42:43], v[154:155]
	v_add_f64_e32 v[209:210], v[108:109], v[50:51]
	s_delay_alu instid0(VALU_DEP_2) | instskip(SKIP_1) | instid1(VALU_DEP_1)
	v_fma_f64 v[60:61], v[40:41], v[152:153], v[1:2]
	v_mul_f64_e32 v[1:2], v[42:43], v[152:153]
	v_fma_f64 v[62:63], v[40:41], v[154:155], -v[1:2]
	v_mul_f64_e32 v[1:2], v[46:47], v[130:131]
	s_delay_alu instid0(VALU_DEP_1) | instskip(SKIP_1) | instid1(VALU_DEP_2)
	v_fma_f64 v[40:41], v[44:45], v[128:129], v[1:2]
	v_mul_f64_e32 v[1:2], v[46:47], v[128:129]
	v_add_f64_e64 v[128:129], v[60:61], -v[40:41]
	s_delay_alu instid0(VALU_DEP_2) | instskip(SKIP_2) | instid1(VALU_DEP_4)
	v_fma_f64 v[42:43], v[44:45], v[130:131], -v[1:2]
	v_mul_f64_e32 v[1:2], v[34:35], v[158:159]
	v_add_f64_e32 v[207:208], v[60:61], v[40:41]
	v_mul_f64_e32 v[150:151], s[34:35], v[128:129]
	s_delay_alu instid0(VALU_DEP_4) | instskip(NEXT) | instid1(VALU_DEP_4)
	v_add_f64_e32 v[205:206], v[62:63], v[42:43]
	v_fma_f64 v[44:45], v[32:33], v[156:157], v[1:2]
	v_mul_f64_e32 v[1:2], v[34:35], v[156:157]
	v_mul_f64_e32 v[225:226], s[18:19], v[128:129]
	s_delay_alu instid0(VALU_DEP_2) | instskip(SKIP_1) | instid1(VALU_DEP_1)
	v_fma_f64 v[46:47], v[32:33], v[158:159], -v[1:2]
	v_mul_f64_e32 v[1:2], v[38:39], v[126:127]
	v_fma_f64 v[32:33], v[36:37], v[124:125], v[1:2]
	v_mul_f64_e32 v[1:2], v[38:39], v[124:125]
	v_add_f64_e64 v[124:125], v[90:91], -v[48:49]
	v_add_f64_e64 v[38:39], v[172:173], -v[112:113]
	s_delay_alu instid0(VALU_DEP_4) | instskip(NEXT) | instid1(VALU_DEP_4)
	v_add_f64_e64 v[132:133], v[44:45], -v[32:33]
	v_fma_f64 v[36:37], v[36:37], v[126:127], -v[1:2]
	v_mul_f64_e32 v[1:2], v[30:31], v[122:123]
	v_add_f64_e64 v[126:127], v[62:63], -v[42:43]
	v_mul_f64_e32 v[138:139], s[34:35], v[124:125]
	v_mul_f64_e32 v[134:135], s[34:35], v[38:39]
	v_add_f64_e32 v[203:204], v[44:45], v[32:33]
	v_mul_f64_e32 v[219:220], s[24:25], v[38:39]
	v_mul_f64_e32 v[229:230], s[36:37], v[124:125]
	;; [unrolled: 1-line block ×4, first 2 shown]
	v_add_f64_e64 v[130:131], v[46:47], -v[36:37]
	v_fma_f64 v[34:35], v[28:29], v[120:121], v[1:2]
	v_mul_f64_e32 v[1:2], v[30:31], v[120:121]
	v_add_f64_e64 v[30:31], v[88:89], -v[26:27]
	v_add_f64_e64 v[120:121], v[114:115], -v[116:117]
	v_mul_f64_e32 v[152:153], s[34:35], v[126:127]
	v_add_f64_e32 v[201:202], v[46:47], v[36:37]
	v_mul_f64_e32 v[227:228], s[18:19], v[126:127]
	v_mul_f64_e32 v[7:8], s[34:35], v[130:131]
	v_add_f64_e32 v[178:179], v[144:145], v[34:35]
	v_fma_f64 v[28:29], v[28:29], v[122:123], -v[1:2]
	v_add_f64_e64 v[122:123], v[108:109], -v[50:51]
	v_add_f64_e64 v[1:2], v[144:145], -v[34:35]
	v_mul_f64_e32 v[15:16], s[34:35], v[30:31]
	v_mul_f64_e32 v[136:137], s[34:35], v[120:121]
	v_mul_f64_e32 v[223:224], s[24:25], v[120:121]
	v_mul_f64_e32 v[235:236], s[24:25], v[30:31]
	v_mul_f64_e32 v[243:244], s[30:31], v[30:31]
	v_add_f64_e32 v[21:22], v[146:147], v[28:29]
	v_mul_f64_e32 v[148:149], s[34:35], v[122:123]
	s_mov_b32 s35, 0xbfddbe06
	v_mul_f64_e32 v[3:4], s[18:19], v[1:2]
	v_mul_f64_e32 v[9:10], s[16:17], v[1:2]
	;; [unrolled: 1-line block ×5, first 2 shown]
	s_wait_alu 0xfffe
	v_mul_f64_e32 v[1:2], s[34:35], v[1:2]
	v_mul_f64_e32 v[231:232], s[36:37], v[122:123]
	v_fma_f64 v[154:155], v[21:22], s[14:15], v[3:4]
	v_fma_f64 v[3:4], v[21:22], s[14:15], -v[3:4]
	v_fma_f64 v[156:157], v[21:22], s[2:3], v[9:10]
	v_fma_f64 v[9:10], v[21:22], s[2:3], -v[9:10]
	;; [unrolled: 2-line block ×6, first 2 shown]
	v_add_f64_e64 v[21:22], v[146:147], -v[28:29]
	v_add_f64_e32 v[144:145], v[142:143], v[154:155]
	v_add_f64_e32 v[154:155], v[142:143], v[3:4]
	v_fma_f64 v[3:4], v[203:204], s[22:23], -v[7:8]
	v_add_f64_e32 v[156:157], v[142:143], v[156:157]
	v_add_f64_e32 v[158:159], v[142:143], v[158:159]
	;; [unrolled: 1-line block ×5, first 2 shown]
	v_fma_f64 v[7:8], v[203:204], s[22:23], v[7:8]
	v_add_f64_e32 v[19:20], v[142:143], v[19:20]
	v_add_f64_e32 v[199:200], v[142:143], v[1:2]
	v_mul_f64_e32 v[166:167], s[18:19], v[21:22]
	v_mul_f64_e32 v[168:169], s[16:17], v[21:22]
	;; [unrolled: 1-line block ×6, first 2 shown]
	v_fma_f64 v[1:2], v[201:202], s[22:23], v[5:6]
	v_fma_f64 v[5:6], v[201:202], s[22:23], -v[5:6]
	s_mov_b32 s35, 0x3fcea1e5
	s_mov_b32 s34, s18
	v_fma_f64 v[181:182], v[178:179], s[14:15], -v[166:167]
	v_fma_f64 v[183:184], v[178:179], s[2:3], -v[168:169]
	v_fma_f64 v[166:167], v[178:179], s[14:15], v[166:167]
	v_fma_f64 v[168:169], v[178:179], s[2:3], v[168:169]
	v_fma_f64 v[185:186], v[178:179], s[0:1], -v[170:171]
	v_fma_f64 v[170:171], v[178:179], s[0:1], v[170:171]
	v_fma_f64 v[187:188], v[178:179], s[10:11], -v[174:175]
	;; [unrolled: 2-line block ×3, first 2 shown]
	v_fma_f64 v[176:177], v[178:179], s[12:13], v[176:177]
	v_fma_f64 v[191:192], v[178:179], s[22:23], v[21:22]
	v_fma_f64 v[21:22], v[178:179], s[22:23], -v[21:22]
	v_add_f64_e32 v[178:179], v[142:143], v[146:147]
	v_add_f64_e32 v[1:2], v[1:2], v[144:145]
	;; [unrolled: 1-line block ×6, first 2 shown]
	v_mul_f64_e32 v[9:10], s[16:17], v[128:129]
	v_add_f64_e32 v[166:167], v[140:141], v[166:167]
	v_add_f64_e32 v[168:169], v[140:141], v[168:169]
	;; [unrolled: 1-line block ×13, first 2 shown]
	v_fma_f64 v[11:12], v[205:206], s[2:3], v[9:10]
	v_fma_f64 v[9:10], v[205:206], s[2:3], -v[9:10]
	v_add_f64_e32 v[7:8], v[7:8], v[166:167]
	v_mul_f64_e32 v[166:167], s[20:21], v[38:39]
	s_delay_alu instid0(VALU_DEP_4) | instskip(SKIP_2) | instid1(VALU_DEP_2)
	v_add_f64_e32 v[1:2], v[11:12], v[1:2]
	v_mul_f64_e32 v[11:12], s[16:17], v[126:127]
	v_add_f64_e32 v[5:6], v[9:10], v[5:6]
	v_fma_f64 v[140:141], v[207:208], s[2:3], -v[11:12]
	v_fma_f64 v[9:10], v[207:208], s[2:3], v[11:12]
	v_fma_f64 v[11:12], v[221:222], s[10:11], v[223:224]
	s_delay_alu instid0(VALU_DEP_3) | instskip(SKIP_1) | instid1(VALU_DEP_4)
	v_add_f64_e32 v[3:4], v[140:141], v[3:4]
	v_mul_f64_e32 v[140:141], s[26:27], v[124:125]
	v_add_f64_e32 v[7:8], v[9:10], v[7:8]
	s_delay_alu instid0(VALU_DEP_2) | instskip(SKIP_2) | instid1(VALU_DEP_3)
	v_fma_f64 v[142:143], v[209:210], s[12:13], v[140:141]
	v_fma_f64 v[9:10], v[209:210], s[12:13], -v[140:141]
	v_mul_f64_e32 v[140:141], s[24:25], v[132:133]
	v_add_f64_e32 v[1:2], v[142:143], v[1:2]
	v_mul_f64_e32 v[142:143], s[26:27], v[122:123]
	s_delay_alu instid0(VALU_DEP_4) | instskip(NEXT) | instid1(VALU_DEP_2)
	v_add_f64_e32 v[5:6], v[9:10], v[5:6]
	v_fma_f64 v[144:145], v[211:212], s[12:13], -v[142:143]
	v_fma_f64 v[9:10], v[211:212], s[12:13], v[142:143]
	v_mul_f64_e32 v[142:143], s[24:25], v[130:131]
	s_mov_b32 s25, 0x3fedeba7
	s_mov_b32 s24, s20
	s_wait_alu 0xfffe
	v_mul_f64_e32 v[237:238], s[24:25], v[128:129]
	v_mul_f64_e32 v[239:240], s[24:25], v[126:127]
	v_add_f64_e32 v[3:4], v[144:145], v[3:4]
	v_mul_f64_e32 v[144:145], s[20:21], v[110:111]
	v_add_f64_e32 v[7:8], v[9:10], v[7:8]
	s_delay_alu instid0(VALU_DEP_2) | instskip(SKIP_3) | instid1(VALU_DEP_4)
	v_fma_f64 v[146:147], v[213:214], s[0:1], v[144:145]
	v_fma_f64 v[9:10], v[213:214], s[0:1], -v[144:145]
	v_mul_f64_e32 v[144:145], s[30:31], v[128:129]
	v_mul_f64_e32 v[128:129], s[28:29], v[128:129]
	v_add_f64_e32 v[1:2], v[146:147], v[1:2]
	v_mul_f64_e32 v[146:147], s[20:21], v[30:31]
	v_add_f64_e32 v[5:6], v[9:10], v[5:6]
	s_delay_alu instid0(VALU_DEP_2) | instskip(SKIP_3) | instid1(VALU_DEP_4)
	v_fma_f64 v[9:10], v[215:216], s[0:1], v[146:147]
	v_fma_f64 v[164:165], v[215:216], s[0:1], -v[146:147]
	v_fma_f64 v[146:147], v[205:206], s[12:13], v[144:145]
	v_fma_f64 v[144:145], v[205:206], s[12:13], -v[144:145]
	v_add_f64_e32 v[9:10], v[9:10], v[7:8]
	v_fma_f64 v[7:8], v[217:218], s[10:11], -v[219:220]
	v_add_f64_e32 v[164:165], v[164:165], v[3:4]
	v_fma_f64 v[3:4], v[217:218], s[10:11], v[219:220]
	v_mul_f64_e32 v[219:220], s[20:21], v[132:133]
	s_delay_alu instid0(VALU_DEP_4)
	v_add_f64_e32 v[7:8], v[7:8], v[5:6]
	v_add_f64_e32 v[5:6], v[11:12], v[9:10]
	v_fma_f64 v[9:10], v[201:202], s[10:11], v[140:141]
	v_fma_f64 v[11:12], v[203:204], s[10:11], -v[142:143]
	v_fma_f64 v[140:141], v[201:202], s[10:11], -v[140:141]
	v_add_f64_e32 v[3:4], v[3:4], v[1:2]
	v_fma_f64 v[1:2], v[221:222], s[10:11], -v[223:224]
	v_fma_f64 v[142:143], v[203:204], s[10:11], v[142:143]
	v_mul_f64_e32 v[223:224], s[20:21], v[130:131]
	v_add_f64_e32 v[9:10], v[9:10], v[156:157]
	v_add_f64_e32 v[11:12], v[11:12], v[181:182]
	v_add_f64_e32 v[140:141], v[140:141], v[183:184]
	v_mul_f64_e32 v[181:182], s[20:21], v[120:121]
	v_add_f64_e32 v[1:2], v[1:2], v[164:165]
	v_add_f64_e32 v[142:143], v[142:143], v[168:169]
	v_mul_f64_e32 v[168:169], s[28:29], v[122:123]
	v_mul_f64_e32 v[183:184], s[34:35], v[30:31]
	;; [unrolled: 1-line block ×3, first 2 shown]
	v_add_f64_e32 v[9:10], v[146:147], v[9:10]
	v_mul_f64_e32 v[146:147], s[30:31], v[126:127]
	v_add_f64_e32 v[140:141], v[144:145], v[140:141]
	v_mul_f64_e32 v[126:127], s[28:29], v[126:127]
	s_delay_alu instid0(VALU_DEP_3) | instskip(SKIP_3) | instid1(VALU_DEP_4)
	v_fma_f64 v[154:155], v[207:208], s[12:13], -v[146:147]
	v_fma_f64 v[144:145], v[207:208], s[12:13], v[146:147]
	v_fma_f64 v[146:147], v[205:206], s[22:23], v[150:151]
	v_fma_f64 v[150:151], v[205:206], s[22:23], -v[150:151]
	v_add_f64_e32 v[11:12], v[154:155], v[11:12]
	v_mul_f64_e32 v[154:155], s[34:35], v[124:125]
	v_add_f64_e32 v[142:143], v[144:145], v[142:143]
	s_delay_alu instid0(VALU_DEP_2) | instskip(SKIP_1) | instid1(VALU_DEP_2)
	v_fma_f64 v[156:157], v[209:210], s[14:15], v[154:155]
	v_fma_f64 v[144:145], v[209:210], s[14:15], -v[154:155]
	v_add_f64_e32 v[9:10], v[156:157], v[9:10]
	v_mul_f64_e32 v[156:157], s[34:35], v[122:123]
	s_delay_alu instid0(VALU_DEP_3) | instskip(NEXT) | instid1(VALU_DEP_2)
	v_add_f64_e32 v[140:141], v[144:145], v[140:141]
	v_fma_f64 v[164:165], v[211:212], s[14:15], -v[156:157]
	v_fma_f64 v[144:145], v[211:212], s[14:15], v[156:157]
	v_fma_f64 v[156:157], v[205:206], s[14:15], -v[225:226]
	s_delay_alu instid0(VALU_DEP_3) | instskip(SKIP_4) | instid1(VALU_DEP_4)
	v_add_f64_e32 v[11:12], v[164:165], v[11:12]
	v_fma_f64 v[164:165], v[213:214], s[22:23], v[13:14]
	v_fma_f64 v[13:14], v[213:214], s[22:23], -v[13:14]
	v_add_f64_e32 v[142:143], v[144:145], v[142:143]
	v_fma_f64 v[144:145], v[221:222], s[0:1], v[181:182]
	v_add_f64_e32 v[9:10], v[164:165], v[9:10]
	v_fma_f64 v[164:165], v[215:216], s[22:23], -v[15:16]
	v_add_f64_e32 v[13:14], v[13:14], v[140:141]
	v_fma_f64 v[15:16], v[215:216], s[22:23], v[15:16]
	v_fma_f64 v[140:141], v[217:218], s[0:1], -v[166:167]
	s_delay_alu instid0(VALU_DEP_4) | instskip(SKIP_1) | instid1(VALU_DEP_4)
	v_add_f64_e32 v[164:165], v[164:165], v[11:12]
	v_fma_f64 v[11:12], v[217:218], s[0:1], v[166:167]
	v_add_f64_e32 v[15:16], v[15:16], v[142:143]
	s_delay_alu instid0(VALU_DEP_4)
	v_add_f64_e32 v[142:143], v[140:141], v[13:14]
	v_mul_f64_e32 v[13:14], s[36:37], v[132:133]
	v_mul_f64_e32 v[166:167], s[28:29], v[124:125]
	;; [unrolled: 1-line block ×3, first 2 shown]
	v_add_f64_e32 v[11:12], v[11:12], v[9:10]
	v_fma_f64 v[9:10], v[221:222], s[0:1], -v[181:182]
	v_add_f64_e32 v[140:141], v[144:145], v[15:16]
	v_fma_f64 v[15:16], v[201:202], s[2:3], v[13:14]
	v_mul_f64_e32 v[181:182], s[34:35], v[110:111]
	v_fma_f64 v[13:14], v[201:202], s[2:3], -v[13:14]
	v_mul_f64_e32 v[110:111], s[16:17], v[110:111]
	v_add_f64_e32 v[9:10], v[9:10], v[164:165]
	v_mul_f64_e32 v[164:165], s[36:37], v[130:131]
	v_add_f64_e32 v[15:16], v[15:16], v[158:159]
	v_add_f64_e32 v[13:14], v[13:14], v[195:196]
	s_delay_alu instid0(VALU_DEP_3) | instskip(NEXT) | instid1(VALU_DEP_3)
	v_fma_f64 v[144:145], v[203:204], s[2:3], -v[164:165]
	v_add_f64_e32 v[15:16], v[146:147], v[15:16]
	v_fma_f64 v[146:147], v[207:208], s[22:23], -v[152:153]
	v_fma_f64 v[164:165], v[203:204], s[2:3], v[164:165]
	v_add_f64_e32 v[13:14], v[150:151], v[13:14]
	v_fma_f64 v[150:151], v[207:208], s[22:23], v[152:153]
	v_fma_f64 v[152:153], v[209:210], s[10:11], -v[166:167]
	v_add_f64_e32 v[144:145], v[144:145], v[185:186]
	v_mul_f64_e32 v[185:186], s[26:27], v[38:39]
	v_mul_f64_e32 v[38:39], s[18:19], v[38:39]
	v_add_f64_e32 v[164:165], v[164:165], v[170:171]
	v_add_f64_e32 v[13:14], v[152:153], v[13:14]
	v_fma_f64 v[152:153], v[211:212], s[10:11], v[168:169]
	v_add_f64_e32 v[144:145], v[146:147], v[144:145]
	v_fma_f64 v[146:147], v[209:210], s[10:11], v[166:167]
	v_add_f64_e32 v[150:151], v[150:151], v[164:165]
	s_delay_alu instid0(VALU_DEP_2) | instskip(SKIP_1) | instid1(VALU_DEP_3)
	v_add_f64_e32 v[15:16], v[146:147], v[15:16]
	v_fma_f64 v[146:147], v[211:212], s[10:11], -v[168:169]
	v_add_f64_e32 v[150:151], v[152:153], v[150:151]
	v_fma_f64 v[152:153], v[213:214], s[14:15], -v[181:182]
	s_delay_alu instid0(VALU_DEP_3) | instskip(SKIP_1) | instid1(VALU_DEP_3)
	v_add_f64_e32 v[144:145], v[146:147], v[144:145]
	v_fma_f64 v[146:147], v[213:214], s[14:15], v[181:182]
	v_add_f64_e32 v[13:14], v[152:153], v[13:14]
	v_fma_f64 v[152:153], v[215:216], s[14:15], v[183:184]
	s_delay_alu instid0(VALU_DEP_3) | instskip(SKIP_1) | instid1(VALU_DEP_3)
	v_add_f64_e32 v[15:16], v[146:147], v[15:16]
	v_fma_f64 v[146:147], v[215:216], s[14:15], -v[183:184]
	v_add_f64_e32 v[150:151], v[152:153], v[150:151]
	v_fma_f64 v[152:153], v[217:218], s[12:13], -v[185:186]
	s_delay_alu instid0(VALU_DEP_3) | instskip(SKIP_1) | instid1(VALU_DEP_3)
	v_add_f64_e32 v[144:145], v[146:147], v[144:145]
	v_fma_f64 v[146:147], v[217:218], s[12:13], v[185:186]
	v_add_f64_e32 v[152:153], v[152:153], v[13:14]
	s_delay_alu instid0(VALU_DEP_2) | instskip(SKIP_1) | instid1(VALU_DEP_1)
	v_add_f64_e32 v[146:147], v[146:147], v[15:16]
	v_mul_f64_e32 v[15:16], s[26:27], v[120:121]
	v_fma_f64 v[154:155], v[221:222], s[12:13], -v[15:16]
	v_fma_f64 v[15:16], v[221:222], s[12:13], v[15:16]
	s_delay_alu instid0(VALU_DEP_2) | instskip(SKIP_1) | instid1(VALU_DEP_3)
	v_add_f64_e32 v[144:145], v[154:155], v[144:145]
	v_fma_f64 v[154:155], v[201:202], s[0:1], -v[219:220]
	v_add_f64_e32 v[150:151], v[15:16], v[150:151]
	s_delay_alu instid0(VALU_DEP_2) | instskip(SKIP_1) | instid1(VALU_DEP_2)
	v_add_f64_e32 v[19:20], v[154:155], v[19:20]
	v_fma_f64 v[154:155], v[203:204], s[0:1], v[223:224]
	v_add_f64_e32 v[19:20], v[156:157], v[19:20]
	s_delay_alu instid0(VALU_DEP_2) | instskip(SKIP_2) | instid1(VALU_DEP_2)
	v_add_f64_e32 v[154:155], v[154:155], v[162:163]
	v_fma_f64 v[156:157], v[207:208], s[14:15], v[227:228]
	v_mul_f64_e32 v[162:163], s[18:19], v[130:131]
	v_add_f64_e32 v[154:155], v[156:157], v[154:155]
	v_fma_f64 v[156:157], v[209:210], s[2:3], -v[229:230]
	s_delay_alu instid0(VALU_DEP_3) | instskip(NEXT) | instid1(VALU_DEP_2)
	v_fma_f64 v[15:16], v[203:204], s[14:15], -v[162:163]
	v_add_f64_e32 v[19:20], v[156:157], v[19:20]
	v_fma_f64 v[156:157], v[211:212], s[2:3], v[231:232]
	s_delay_alu instid0(VALU_DEP_3) | instskip(NEXT) | instid1(VALU_DEP_2)
	v_add_f64_e32 v[15:16], v[15:16], v[187:188]
	v_add_f64_e32 v[154:155], v[156:157], v[154:155]
	v_fma_f64 v[156:157], v[213:214], s[10:11], -v[233:234]
	s_delay_alu instid0(VALU_DEP_1) | instskip(SKIP_1) | instid1(VALU_DEP_1)
	v_add_f64_e32 v[19:20], v[156:157], v[19:20]
	v_fma_f64 v[156:157], v[215:216], s[10:11], v[235:236]
	v_add_f64_e32 v[154:155], v[156:157], v[154:155]
	v_fma_f64 v[156:157], v[217:218], s[22:23], -v[134:135]
	s_delay_alu instid0(VALU_DEP_1) | instskip(SKIP_1) | instid1(VALU_DEP_1)
	v_add_f64_e32 v[156:157], v[156:157], v[19:20]
	v_fma_f64 v[19:20], v[221:222], s[22:23], v[136:137]
	v_add_f64_e32 v[154:155], v[19:20], v[154:155]
	v_mul_f64_e32 v[19:20], s[18:19], v[132:133]
	s_delay_alu instid0(VALU_DEP_1) | instskip(SKIP_2) | instid1(VALU_DEP_3)
	v_fma_f64 v[158:159], v[201:202], s[14:15], -v[19:20]
	v_fma_f64 v[13:14], v[201:202], s[14:15], v[19:20]
	v_fma_f64 v[19:20], v[205:206], s[0:1], v[237:238]
	v_add_f64_e32 v[17:18], v[158:159], v[17:18]
	v_fma_f64 v[158:159], v[203:204], s[14:15], v[162:163]
	s_delay_alu instid0(VALU_DEP_4) | instskip(NEXT) | instid1(VALU_DEP_2)
	v_add_f64_e32 v[13:14], v[13:14], v[197:198]
	v_add_f64_e32 v[158:159], v[158:159], v[160:161]
	v_fma_f64 v[160:161], v[205:206], s[0:1], -v[237:238]
	s_delay_alu instid0(VALU_DEP_3) | instskip(SKIP_1) | instid1(VALU_DEP_3)
	v_add_f64_e32 v[13:14], v[19:20], v[13:14]
	v_fma_f64 v[19:20], v[207:208], s[0:1], -v[239:240]
	v_add_f64_e32 v[17:18], v[160:161], v[17:18]
	v_fma_f64 v[160:161], v[207:208], s[0:1], v[239:240]
	s_delay_alu instid0(VALU_DEP_3) | instskip(SKIP_1) | instid1(VALU_DEP_3)
	v_add_f64_e32 v[15:16], v[19:20], v[15:16]
	v_fma_f64 v[19:20], v[209:210], s[22:23], v[138:139]
	v_add_f64_e32 v[158:159], v[160:161], v[158:159]
	v_fma_f64 v[160:161], v[209:210], s[22:23], -v[138:139]
	s_delay_alu instid0(VALU_DEP_3) | instskip(SKIP_1) | instid1(VALU_DEP_3)
	v_add_f64_e32 v[13:14], v[19:20], v[13:14]
	v_fma_f64 v[19:20], v[211:212], s[22:23], -v[148:149]
	v_add_f64_e32 v[17:18], v[160:161], v[17:18]
	v_fma_f64 v[160:161], v[211:212], s[22:23], v[148:149]
	s_delay_alu instid0(VALU_DEP_3) | instskip(SKIP_1) | instid1(VALU_DEP_3)
	v_add_f64_e32 v[15:16], v[19:20], v[15:16]
	v_fma_f64 v[19:20], v[213:214], s[12:13], v[241:242]
	;; [unrolled: 10-line block ×3, first 2 shown]
	v_add_f64_e32 v[158:159], v[160:161], v[158:159]
	v_fma_f64 v[160:161], v[217:218], s[2:3], -v[245:246]
	s_delay_alu instid0(VALU_DEP_3) | instskip(SKIP_2) | instid1(VALU_DEP_4)
	v_add_f64_e32 v[164:165], v[19:20], v[13:14]
	v_fma_f64 v[13:14], v[201:202], s[0:1], v[219:220]
	v_fma_f64 v[19:20], v[221:222], s[22:23], -v[136:137]
	v_add_f64_e32 v[160:161], v[160:161], v[17:18]
	v_mul_f64_e32 v[17:18], s[16:17], v[120:121]
	s_delay_alu instid0(VALU_DEP_4) | instskip(NEXT) | instid1(VALU_DEP_2)
	v_add_f64_e32 v[13:14], v[13:14], v[174:175]
	v_fma_f64 v[247:248], v[221:222], s[2:3], v[17:18]
	v_fma_f64 v[17:18], v[221:222], s[2:3], -v[17:18]
	s_delay_alu instid0(VALU_DEP_2) | instskip(NEXT) | instid1(VALU_DEP_2)
	v_add_f64_e32 v[158:159], v[247:248], v[158:159]
	v_add_f64_e32 v[162:163], v[17:18], v[15:16]
	v_fma_f64 v[15:16], v[203:204], s[0:1], -v[223:224]
	v_fma_f64 v[17:18], v[205:206], s[14:15], v[225:226]
	s_delay_alu instid0(VALU_DEP_2) | instskip(NEXT) | instid1(VALU_DEP_2)
	v_add_f64_e32 v[15:16], v[15:16], v[189:190]
	v_add_f64_e32 v[13:14], v[17:18], v[13:14]
	v_fma_f64 v[17:18], v[207:208], s[14:15], -v[227:228]
	s_delay_alu instid0(VALU_DEP_1) | instskip(SKIP_1) | instid1(VALU_DEP_1)
	v_add_f64_e32 v[15:16], v[17:18], v[15:16]
	v_fma_f64 v[17:18], v[209:210], s[2:3], v[229:230]
	v_add_f64_e32 v[13:14], v[17:18], v[13:14]
	v_fma_f64 v[17:18], v[211:212], s[2:3], -v[231:232]
	s_delay_alu instid0(VALU_DEP_1) | instskip(SKIP_1) | instid1(VALU_DEP_1)
	v_add_f64_e32 v[15:16], v[17:18], v[15:16]
	v_fma_f64 v[17:18], v[213:214], s[10:11], v[233:234]
	v_add_f64_e32 v[13:14], v[17:18], v[13:14]
	v_fma_f64 v[17:18], v[215:216], s[10:11], -v[235:236]
	s_delay_alu instid0(VALU_DEP_1) | instskip(SKIP_1) | instid1(VALU_DEP_2)
	v_add_f64_e32 v[15:16], v[17:18], v[15:16]
	v_fma_f64 v[17:18], v[217:218], s[22:23], v[134:135]
	v_add_f64_e32 v[134:135], v[19:20], v[15:16]
	s_delay_alu instid0(VALU_DEP_2)
	v_add_f64_e32 v[136:137], v[17:18], v[13:14]
	v_mul_f64_e32 v[13:14], s[30:31], v[132:133]
	v_mul_f64_e32 v[17:18], s[30:31], v[130:131]
	v_fma_f64 v[130:131], v[205:206], s[10:11], -v[128:129]
	v_mul_f64_e32 v[132:133], s[18:19], v[120:121]
	v_fma_f64 v[120:121], v[217:218], s[14:15], -v[38:39]
	v_fma_f64 v[15:16], v[201:202], s[12:13], -v[13:14]
	v_fma_f64 v[19:20], v[203:204], s[12:13], v[17:18]
	v_fma_f64 v[13:14], v[201:202], s[12:13], v[13:14]
	s_delay_alu instid0(VALU_DEP_3) | instskip(NEXT) | instid1(VALU_DEP_3)
	v_add_f64_e32 v[15:16], v[15:16], v[199:200]
	v_add_f64_e32 v[19:20], v[19:20], v[191:192]
	s_delay_alu instid0(VALU_DEP_3) | instskip(NEXT) | instid1(VALU_DEP_3)
	v_add_f64_e32 v[13:14], v[13:14], v[176:177]
	v_add_f64_e32 v[15:16], v[130:131], v[15:16]
	v_fma_f64 v[130:131], v[207:208], s[10:11], v[126:127]
	s_delay_alu instid0(VALU_DEP_1) | instskip(SKIP_1) | instid1(VALU_DEP_1)
	v_add_f64_e32 v[19:20], v[130:131], v[19:20]
	v_fma_f64 v[130:131], v[209:210], s[0:1], -v[124:125]
	v_add_f64_e32 v[15:16], v[130:131], v[15:16]
	v_mul_f64_e32 v[130:131], s[20:21], v[122:123]
	s_delay_alu instid0(VALU_DEP_1) | instskip(NEXT) | instid1(VALU_DEP_1)
	v_fma_f64 v[122:123], v[211:212], s[0:1], v[130:131]
	v_add_f64_e32 v[19:20], v[122:123], v[19:20]
	v_fma_f64 v[122:123], v[213:214], s[2:3], -v[110:111]
	s_delay_alu instid0(VALU_DEP_1) | instskip(SKIP_1) | instid1(VALU_DEP_1)
	v_add_f64_e32 v[15:16], v[122:123], v[15:16]
	v_fma_f64 v[122:123], v[215:216], s[2:3], v[30:31]
	v_add_f64_e32 v[19:20], v[122:123], v[19:20]
	s_delay_alu instid0(VALU_DEP_3) | instskip(SKIP_1) | instid1(VALU_DEP_1)
	v_add_f64_e32 v[122:123], v[120:121], v[15:16]
	v_fma_f64 v[15:16], v[221:222], s[14:15], v[132:133]
	v_add_f64_e32 v[120:121], v[15:16], v[19:20]
	v_add_f64_e32 v[15:16], v[178:179], v[46:47]
	;; [unrolled: 1-line block ×3, first 2 shown]
	s_delay_alu instid0(VALU_DEP_2) | instskip(NEXT) | instid1(VALU_DEP_2)
	v_add_f64_e32 v[15:16], v[15:16], v[62:63]
	v_add_f64_e32 v[19:20], v[19:20], v[60:61]
	s_delay_alu instid0(VALU_DEP_2) | instskip(NEXT) | instid1(VALU_DEP_2)
	v_add_f64_e32 v[15:16], v[15:16], v[108:109]
	v_add_f64_e32 v[19:20], v[19:20], v[90:91]
	;; [unrolled: 3-line block ×9, first 2 shown]
	s_delay_alu instid0(VALU_DEP_2) | instskip(SKIP_1) | instid1(VALU_DEP_3)
	v_add_f64_e32 v[26:27], v[15:16], v[28:29]
	v_fma_f64 v[15:16], v[203:204], s[12:13], -v[17:18]
	v_add_f64_e32 v[24:25], v[19:20], v[34:35]
	v_fma_f64 v[17:18], v[205:206], s[10:11], v[128:129]
	v_fma_f64 v[19:20], v[207:208], s[10:11], -v[126:127]
	v_fma_f64 v[28:29], v[211:212], s[0:1], -v[130:131]
	v_add_f64_e32 v[15:16], v[15:16], v[21:22]
	v_fma_f64 v[21:22], v[209:210], s[0:1], v[124:125]
	v_add_f64_e32 v[13:14], v[17:18], v[13:14]
	v_fma_f64 v[17:18], v[213:214], s[2:3], v[110:111]
	s_delay_alu instid0(VALU_DEP_4) | instskip(SKIP_1) | instid1(VALU_DEP_4)
	v_add_f64_e32 v[15:16], v[19:20], v[15:16]
	v_fma_f64 v[19:20], v[215:216], s[2:3], -v[30:31]
	v_add_f64_e32 v[13:14], v[21:22], v[13:14]
	v_fma_f64 v[21:22], v[217:218], s[14:15], v[38:39]
	s_delay_alu instid0(VALU_DEP_4) | instskip(SKIP_1) | instid1(VALU_DEP_4)
	v_add_f64_e32 v[15:16], v[28:29], v[15:16]
	v_fma_f64 v[28:29], v[221:222], s[14:15], -v[132:133]
	v_add_f64_e32 v[13:14], v[17:18], v[13:14]
	s_delay_alu instid0(VALU_DEP_3) | instskip(NEXT) | instid1(VALU_DEP_2)
	v_add_f64_e32 v[15:16], v[19:20], v[15:16]
	v_add_f64_e32 v[30:31], v[21:22], v[13:14]
	v_lshrrev_b32_e32 v13, 1, v180
	v_and_b32_e32 v14, 1, v180
	s_delay_alu instid0(VALU_DEP_2) | instskip(NEXT) | instid1(VALU_DEP_1)
	v_mul_u32_u24_e32 v13, 26, v13
	v_or_b32_e32 v13, v13, v14
	s_delay_alu instid0(VALU_DEP_1)
	v_lshlrev_b32_e32 v13, 4, v13
	v_add_f64_e32 v[28:29], v[28:29], v[15:16]
	ds_store_b128 v13, v[154:157] offset:64
	ds_store_b128 v13, v[158:161] offset:96
	;; [unrolled: 1-line block ×11, first 2 shown]
	ds_store_b128 v13, v[24:27]
	ds_store_b128 v13, v[28:31] offset:384
.LBB0_21:
	s_or_b32 exec_lo, exec_lo, s33
	global_wb scope:SCOPE_SE
	s_wait_dscnt 0x0
	s_barrier_signal -1
	s_barrier_wait -1
	global_inv scope:SCOPE_SE
	ds_load_b128 v[1:4], v255 offset:2912
	ds_load_b128 v[5:8], v255 offset:5824
	;; [unrolled: 1-line block ×6, first 2 shown]
	s_mov_b32 s2, 0x37e14327
	s_mov_b32 s10, 0xe976ee23
	s_mov_b32 s3, 0x3fe948f6
	s_mov_b32 s11, 0x3fe11646
	s_mov_b32 s0, 0x429ad128
	s_mov_b32 s1, 0xbfebfeb5
	s_mov_b32 s12, 0x36b3c0b5
	s_mov_b32 s13, 0x3fac98ee
	s_mov_b32 s14, 0xaaaaaaaa
	s_mov_b32 s20, 0xb247c609
	s_mov_b32 s15, 0xbff2aaaa
	s_mov_b32 s16, 0x5476071b
	s_mov_b32 s21, 0xbfd5d0dc
	s_mov_b32 s17, 0x3fe77f67
	s_wait_dscnt 0x5
	v_mul_f64_e32 v[13:14], v[58:59], v[3:4]
	v_mul_f64_e32 v[15:16], v[58:59], v[1:2]
	s_wait_dscnt 0x4
	v_mul_f64_e32 v[17:18], v[54:55], v[7:8]
	v_mul_f64_e32 v[19:20], v[54:55], v[5:6]
	;; [unrolled: 3-line block ×6, first 2 shown]
	s_mov_b32 s19, 0xbfe77f67
	s_mov_b32 s23, 0x3fd5d0dc
	s_wait_alu 0xfffe
	s_mov_b32 s18, s16
	s_mov_b32 s22, s20
	;; [unrolled: 1-line block ×4, first 2 shown]
	v_fma_f64 v[1:2], v[56:57], v[1:2], v[13:14]
	v_fma_f64 v[3:4], v[56:57], v[3:4], -v[15:16]
	v_fma_f64 v[5:6], v[52:53], v[5:6], v[17:18]
	v_fma_f64 v[7:8], v[52:53], v[7:8], -v[19:20]
	v_fma_f64 v[9:10], v[64:65], v[9:10], v[21:22]
	v_fma_f64 v[11:12], v[64:65], v[11:12], -v[36:37]
	v_fma_f64 v[13:14], v[76:77], v[24:25], v[38:39]
	v_fma_f64 v[15:16], v[76:77], v[26:27], -v[40:41]
	v_fma_f64 v[17:18], v[72:73], v[28:29], v[42:43]
	v_fma_f64 v[19:20], v[72:73], v[30:31], -v[44:45]
	v_fma_f64 v[21:22], v[68:69], v[32:33], v[46:47]
	v_fma_f64 v[23:24], v[68:69], v[34:35], -v[48:49]
	v_add_f64_e32 v[25:26], v[1:2], v[9:10]
	v_add_f64_e32 v[27:28], v[3:4], v[11:12]
	;; [unrolled: 1-line block ×4, first 2 shown]
	v_add_f64_e64 v[5:6], v[5:6], -v[13:14]
	v_add_f64_e64 v[7:8], v[7:8], -v[15:16]
	v_add_f64_e32 v[13:14], v[17:18], v[21:22]
	v_add_f64_e32 v[15:16], v[19:20], v[23:24]
	v_add_f64_e64 v[17:18], v[21:22], -v[17:18]
	v_add_f64_e64 v[19:20], v[23:24], -v[19:20]
	;; [unrolled: 1-line block ×4, first 2 shown]
	v_add_f64_e32 v[1:2], v[29:30], v[25:26]
	v_add_f64_e32 v[3:4], v[31:32], v[27:28]
	v_add_f64_e64 v[21:22], v[25:26], -v[13:14]
	v_add_f64_e64 v[23:24], v[27:28], -v[15:16]
	;; [unrolled: 1-line block ×6, first 2 shown]
	v_add_f64_e32 v[5:6], v[17:18], v[5:6]
	v_add_f64_e32 v[7:8], v[19:20], v[7:8]
	v_add_f64_e64 v[17:18], v[9:10], -v[17:18]
	v_add_f64_e64 v[19:20], v[11:12], -v[19:20]
	;; [unrolled: 1-line block ×4, first 2 shown]
	v_add_f64_e32 v[41:42], v[13:14], v[1:2]
	v_add_f64_e32 v[43:44], v[15:16], v[3:4]
	v_add_f64_e64 v[13:14], v[13:14], -v[29:30]
	v_add_f64_e64 v[15:16], v[15:16], -v[31:32]
	ds_load_b128 v[1:4], v255
	v_mul_f64_e32 v[21:22], s[2:3], v[21:22]
	v_mul_f64_e32 v[23:24], s[2:3], v[23:24]
	;; [unrolled: 1-line block ×6, first 2 shown]
	v_add_f64_e32 v[5:6], v[5:6], v[9:10]
	v_add_f64_e32 v[7:8], v[7:8], v[11:12]
	global_wb scope:SCOPE_SE
	s_wait_dscnt 0x0
	s_barrier_signal -1
	s_barrier_wait -1
	global_inv scope:SCOPE_SE
	v_add_f64_e32 v[1:2], v[1:2], v[41:42]
	v_add_f64_e32 v[3:4], v[3:4], v[43:44]
	v_mul_f64_e32 v[29:30], s[12:13], v[13:14]
	v_mul_f64_e32 v[31:32], s[12:13], v[15:16]
	v_fma_f64 v[9:10], v[13:14], s[12:13], v[21:22]
	v_fma_f64 v[11:12], v[15:16], s[12:13], v[23:24]
	;; [unrolled: 1-line block ×4, first 2 shown]
	v_fma_f64 v[33:34], v[37:38], s[0:1], -v[33:34]
	v_fma_f64 v[35:36], v[39:40], s[0:1], -v[35:36]
	s_wait_alu 0xfffe
	v_fma_f64 v[17:18], v[17:18], s[22:23], -v[45:46]
	v_fma_f64 v[19:20], v[19:20], s[22:23], -v[47:48]
	;; [unrolled: 1-line block ×4, first 2 shown]
	v_fma_f64 v[37:38], v[41:42], s[14:15], v[1:2]
	v_fma_f64 v[39:40], v[43:44], s[14:15], v[3:4]
	v_fma_f64 v[25:26], v[25:26], s[16:17], -v[29:30]
	v_fma_f64 v[27:28], v[27:28], s[16:17], -v[31:32]
	v_fma_f64 v[13:14], v[5:6], s[24:25], v[13:14]
	v_fma_f64 v[15:16], v[7:8], s[24:25], v[15:16]
	;; [unrolled: 1-line block ×6, first 2 shown]
	v_add_f64_e32 v[41:42], v[9:10], v[37:38]
	v_add_f64_e32 v[43:44], v[11:12], v[39:40]
	;; [unrolled: 1-line block ×7, first 2 shown]
	v_add_f64_e64 v[7:8], v[43:44], -v[13:14]
	v_add_f64_e32 v[9:10], v[19:20], v[21:22]
	v_add_f64_e64 v[11:12], v[34:35], -v[17:18]
	v_add_f64_e64 v[24:25], v[36:37], -v[32:33]
	v_add_f64_e32 v[26:27], v[30:31], v[38:39]
	v_add_f64_e32 v[28:29], v[32:33], v[36:37]
	v_add_f64_e64 v[30:31], v[38:39], -v[30:31]
	v_add_f64_e64 v[32:33], v[21:22], -v[19:20]
	v_add_f64_e32 v[34:35], v[17:18], v[34:35]
	v_add_f64_e64 v[36:37], v[41:42], -v[15:16]
	v_add_f64_e32 v[38:39], v[13:14], v[43:44]
	ds_store_b128 v0, v[1:4]
	ds_store_b128 v0, v[5:8] offset:416
	ds_store_b128 v0, v[9:12] offset:832
	;; [unrolled: 1-line block ×6, first 2 shown]
	global_wb scope:SCOPE_SE
	s_wait_dscnt 0x0
	s_barrier_signal -1
	s_barrier_wait -1
	global_inv scope:SCOPE_SE
	ds_load_b128 v[0:3], v255 offset:2912
	ds_load_b128 v[4:7], v255 offset:5824
	;; [unrolled: 1-line block ×6, first 2 shown]
	s_wait_dscnt 0x5
	v_mul_f64_e32 v[16:17], v[86:87], v[2:3]
	v_mul_f64_e32 v[18:19], v[86:87], v[0:1]
	s_wait_dscnt 0x4
	v_mul_f64_e32 v[20:21], v[82:83], v[6:7]
	v_mul_f64_e32 v[22:23], v[82:83], v[4:5]
	;; [unrolled: 3-line block ×6, first 2 shown]
	v_fma_f64 v[0:1], v[84:85], v[0:1], v[16:17]
	v_fma_f64 v[2:3], v[84:85], v[2:3], -v[18:19]
	v_fma_f64 v[4:5], v[80:81], v[4:5], v[20:21]
	v_fma_f64 v[6:7], v[80:81], v[6:7], -v[22:23]
	;; [unrolled: 2-line block ×6, first 2 shown]
	v_add_f64_e32 v[24:25], v[0:1], v[8:9]
	v_add_f64_e32 v[26:27], v[2:3], v[10:11]
	;; [unrolled: 1-line block ×4, first 2 shown]
	v_add_f64_e64 v[4:5], v[4:5], -v[12:13]
	v_add_f64_e64 v[6:7], v[6:7], -v[14:15]
	v_add_f64_e32 v[12:13], v[16:17], v[20:21]
	v_add_f64_e32 v[14:15], v[18:19], v[22:23]
	v_add_f64_e64 v[16:17], v[20:21], -v[16:17]
	v_add_f64_e64 v[18:19], v[22:23], -v[18:19]
	;; [unrolled: 1-line block ×4, first 2 shown]
	v_add_f64_e32 v[0:1], v[28:29], v[24:25]
	v_add_f64_e32 v[2:3], v[30:31], v[26:27]
	v_add_f64_e64 v[20:21], v[24:25], -v[12:13]
	v_add_f64_e64 v[22:23], v[26:27], -v[14:15]
	;; [unrolled: 1-line block ×6, first 2 shown]
	v_add_f64_e32 v[4:5], v[16:17], v[4:5]
	v_add_f64_e32 v[6:7], v[18:19], v[6:7]
	v_add_f64_e64 v[16:17], v[8:9], -v[16:17]
	v_add_f64_e64 v[18:19], v[10:11], -v[18:19]
	v_add_f64_e64 v[24:25], v[28:29], -v[24:25]
	v_add_f64_e64 v[26:27], v[30:31], -v[26:27]
	v_add_f64_e32 v[40:41], v[12:13], v[0:1]
	v_add_f64_e32 v[42:43], v[14:15], v[2:3]
	v_add_f64_e64 v[12:13], v[12:13], -v[28:29]
	v_add_f64_e64 v[14:15], v[14:15], -v[30:31]
	ds_load_b128 v[0:3], v255
	v_mul_f64_e32 v[20:21], s[2:3], v[20:21]
	v_mul_f64_e32 v[22:23], s[2:3], v[22:23]
	;; [unrolled: 1-line block ×6, first 2 shown]
	v_add_f64_e32 v[4:5], v[4:5], v[8:9]
	v_add_f64_e32 v[6:7], v[6:7], v[10:11]
	s_mov_b32 s2, 0xf5262dd1
	s_mov_b32 s3, 0x3f49b876
	s_movk_i32 s10, 0xfe39
	s_mov_b32 s11, -1
	s_wait_dscnt 0x0
	v_add_f64_e32 v[0:1], v[0:1], v[40:41]
	v_add_f64_e32 v[2:3], v[2:3], v[42:43]
	v_mul_f64_e32 v[28:29], s[12:13], v[12:13]
	v_mul_f64_e32 v[30:31], s[12:13], v[14:15]
	v_fma_f64 v[8:9], v[12:13], s[12:13], v[20:21]
	v_fma_f64 v[10:11], v[14:15], s[12:13], v[22:23]
	;; [unrolled: 1-line block ×4, first 2 shown]
	v_fma_f64 v[32:33], v[36:37], s[0:1], -v[32:33]
	v_fma_f64 v[34:35], v[38:39], s[0:1], -v[34:35]
	v_fma_f64 v[16:17], v[16:17], s[22:23], -v[44:45]
	v_fma_f64 v[18:19], v[18:19], s[22:23], -v[46:47]
	v_fma_f64 v[20:21], v[24:25], s[18:19], -v[20:21]
	v_fma_f64 v[22:23], v[26:27], s[18:19], -v[22:23]
	v_fma_f64 v[36:37], v[40:41], s[14:15], v[0:1]
	v_fma_f64 v[38:39], v[42:43], s[14:15], v[2:3]
	v_fma_f64 v[24:25], v[24:25], s[16:17], -v[28:29]
	v_fma_f64 v[26:27], v[26:27], s[16:17], -v[30:31]
	v_fma_f64 v[40:41], v[4:5], s[24:25], v[12:13]
	v_fma_f64 v[42:43], v[6:7], s[24:25], v[14:15]
	;; [unrolled: 1-line block ×6, first 2 shown]
	v_add_f64_e32 v[32:33], v[8:9], v[36:37]
	v_add_f64_e32 v[34:35], v[10:11], v[38:39]
	;; [unrolled: 1-line block ×7, first 2 shown]
	v_add_f64_e64 v[6:7], v[34:35], -v[40:41]
	v_add_f64_e32 v[8:9], v[18:19], v[20:21]
	v_add_f64_e64 v[10:11], v[22:23], -v[16:17]
	v_add_f64_e64 v[12:13], v[24:25], -v[30:31]
	v_add_f64_e32 v[14:15], v[28:29], v[26:27]
	v_add_f64_e32 v[24:25], v[30:31], v[24:25]
	v_add_f64_e64 v[26:27], v[26:27], -v[28:29]
	v_add_f64_e64 v[28:29], v[20:21], -v[18:19]
	v_add_f64_e32 v[30:31], v[16:17], v[22:23]
	v_add_f64_e64 v[32:33], v[32:33], -v[42:43]
	v_add_f64_e32 v[34:35], v[40:41], v[34:35]
	ds_store_b128 v255, v[0:3]
	ds_store_b128 v255, v[4:7] offset:2912
	ds_store_b128 v255, v[8:11] offset:5824
	;; [unrolled: 1-line block ×6, first 2 shown]
	global_wb scope:SCOPE_SE
	s_wait_dscnt 0x0
	s_barrier_signal -1
	s_barrier_wait -1
	global_inv scope:SCOPE_SE
	ds_load_b128 v[0:3], v255
	ds_load_b128 v[4:7], v255 offset:10192
	ds_load_b128 v[8:11], v255 offset:2912
	;; [unrolled: 1-line block ×5, first 2 shown]
	s_clause 0x2
	scratch_load_b128 v[55:58], off, off offset:32 th:TH_LOAD_LU
	scratch_load_b128 v[51:54], off, off offset:16 th:TH_LOAD_LU
	scratch_load_b64 v[48:49], off, off offset:8 th:TH_LOAD_LU
	s_wait_loadcnt_dscnt 0x205
	v_mul_f64_e32 v[16:17], v[57:58], v[2:3]
	v_mul_f64_e32 v[18:19], v[57:58], v[0:1]
	scratch_load_b128 v[57:60], off, off offset:48 th:TH_LOAD_LU ; 16-byte Folded Reload
	s_wait_loadcnt_dscnt 0x204
	v_mul_f64_e32 v[20:21], v[53:54], v[6:7]
	v_mul_f64_e32 v[22:23], v[53:54], v[4:5]
	s_wait_loadcnt 0x1
	v_mov_b32_e32 v50, v48
	s_delay_alu instid0(VALU_DEP_1)
	v_mad_co_u64_u32 v[48:49], null, s6, v50, 0
	v_fma_f64 v[0:1], v[55:56], v[0:1], v[16:17]
	v_fma_f64 v[16:17], v[55:56], v[2:3], -v[18:19]
	v_mad_co_u64_u32 v[2:3], null, s4, v180, 0
	v_fma_f64 v[18:19], v[51:52], v[4:5], v[20:21]
	v_fma_f64 v[20:21], v[51:52], v[6:7], -v[22:23]
	v_mov_b32_e32 v4, v49
	s_delay_alu instid0(VALU_DEP_1) | instskip(SKIP_3) | instid1(VALU_DEP_1)
	v_mad_co_u64_u32 v[4:5], null, s7, v50, v[4:5]
	s_mul_u64 s[6:7], s[4:5], 0x27d
	s_wait_alu 0xfffe
	s_lshl_b64 s[6:7], s[6:7], 4
	v_mad_co_u64_u32 v[5:6], null, s5, v180, v[3:4]
	v_mov_b32_e32 v49, v4
	s_mul_u64 s[4:5], s[4:5], s[10:11]
	s_wait_alu 0xfffe
	s_lshl_b64 s[4:5], s[4:5], 4
	s_delay_alu instid0(VALU_DEP_2)
	v_mov_b32_e32 v3, v5
	v_mul_f64_e32 v[4:5], s[2:3], v[16:17]
	v_mul_f64_e32 v[6:7], s[2:3], v[18:19]
	s_wait_loadcnt_dscnt 0x3
	v_mul_f64_e32 v[32:33], v[59:60], v[10:11]
	v_mul_f64_e32 v[34:35], v[59:60], v[8:9]
	scratch_load_b128 v[59:62], off, off offset:64 th:TH_LOAD_LU ; 16-byte Folded Reload
	v_fma_f64 v[22:23], v[57:58], v[8:9], v[32:33]
	v_fma_f64 v[32:33], v[57:58], v[10:11], -v[34:35]
	v_mul_f64_e32 v[8:9], s[2:3], v[20:21]
	s_delay_alu instid0(VALU_DEP_3)
	v_mul_f64_e32 v[10:11], s[2:3], v[22:23]
	s_wait_loadcnt_dscnt 0x2
	v_mul_f64_e32 v[36:37], v[61:62], v[14:15]
	v_mul_f64_e32 v[38:39], v[61:62], v[12:13]
	scratch_load_b128 v[61:64], off, off offset:80 th:TH_LOAD_LU ; 16-byte Folded Reload
	v_fma_f64 v[34:35], v[59:60], v[12:13], v[36:37]
	v_fma_f64 v[36:37], v[59:60], v[14:15], -v[38:39]
	v_lshlrev_b64_e32 v[38:39], 4, v[48:49]
	v_mul_f64_e32 v[12:13], s[2:3], v[32:33]
	s_delay_alu instid0(VALU_DEP_4) | instskip(NEXT) | instid1(VALU_DEP_4)
	v_mul_f64_e32 v[14:15], s[2:3], v[34:35]
	v_mul_f64_e32 v[16:17], s[2:3], v[36:37]
	s_wait_loadcnt_dscnt 0x1
	v_mul_f64_e32 v[40:41], v[63:64], v[26:27]
	v_mul_f64_e32 v[42:43], v[63:64], v[24:25]
	scratch_load_b128 v[63:66], off, off offset:96 th:TH_LOAD_LU ; 16-byte Folded Reload
	v_fma_f64 v[24:25], v[61:62], v[24:25], v[40:41]
	v_fma_f64 v[26:27], v[61:62], v[26:27], -v[42:43]
	v_lshlrev_b64_e32 v[40:41], 4, v[2:3]
	v_mul_f64_e32 v[2:3], s[2:3], v[0:1]
	v_add_co_u32 v0, s0, s8, v38
	s_wait_alu 0xf1ff
	v_add_co_ci_u32_e64 v1, s0, s9, v39, s0
	v_mul_f64_e32 v[18:19], s[2:3], v[24:25]
	v_mul_f64_e32 v[20:21], s[2:3], v[26:27]
	v_add_co_u32 v26, s0, v0, v40
	s_wait_alu 0xf1ff
	v_add_co_ci_u32_e64 v27, s0, v1, v41, s0
	s_wait_loadcnt_dscnt 0x0
	v_mul_f64_e32 v[44:45], v[65:66], v[30:31]
	v_mul_f64_e32 v[46:47], v[65:66], v[28:29]
	s_delay_alu instid0(VALU_DEP_2) | instskip(NEXT) | instid1(VALU_DEP_2)
	v_fma_f64 v[28:29], v[63:64], v[28:29], v[44:45]
	v_fma_f64 v[30:31], v[63:64], v[30:31], -v[46:47]
	s_delay_alu instid0(VALU_DEP_2) | instskip(NEXT) | instid1(VALU_DEP_2)
	v_mul_f64_e32 v[22:23], s[2:3], v[28:29]
	v_mul_f64_e32 v[24:25], s[2:3], v[30:31]
	v_add_co_u32 v28, s0, v26, s6
	s_wait_alu 0xf1ff
	v_add_co_ci_u32_e64 v29, s0, s7, v27, s0
	s_wait_alu 0xfffe
	s_delay_alu instid0(VALU_DEP_2) | instskip(SKIP_1) | instid1(VALU_DEP_2)
	v_add_co_u32 v30, s0, v28, s4
	s_wait_alu 0xf1ff
	v_add_co_ci_u32_e64 v31, s0, s5, v29, s0
	s_delay_alu instid0(VALU_DEP_2) | instskip(SKIP_1) | instid1(VALU_DEP_2)
	v_add_co_u32 v32, s0, v30, s6
	s_wait_alu 0xf1ff
	v_add_co_ci_u32_e64 v33, s0, s7, v31, s0
	;; [unrolled: 4-line block ×4, first 2 shown]
	s_clause 0x4
	global_store_b128 v[26:27], v[2:5], off
	global_store_b128 v[28:29], v[6:9], off
	;; [unrolled: 1-line block ×6, first 2 shown]
	s_and_b32 exec_lo, exec_lo, vcc_lo
	s_cbranch_execz .LBB0_23
; %bb.22:
	scratch_load_b64 v[6:7], off, off th:TH_LOAD_LU ; 8-byte Folded Reload
	v_add_co_u32 v0, vcc_lo, v0, s4
	s_wait_alu 0xfffd
	v_add_co_ci_u32_e32 v1, vcc_lo, s5, v1, vcc_lo
	s_wait_loadcnt 0x0
	s_clause 0x1
	global_load_b128 v[2:5], v[6:7], off offset:8736
	global_load_b128 v[6:9], v[6:7], off offset:18928
	ds_load_b128 v[10:13], v255 offset:8736
	ds_load_b128 v[14:17], v255 offset:18928
	s_wait_loadcnt_dscnt 0x101
	v_mul_f64_e32 v[18:19], v[12:13], v[4:5]
	v_mul_f64_e32 v[4:5], v[10:11], v[4:5]
	s_wait_loadcnt_dscnt 0x0
	v_mul_f64_e32 v[20:21], v[16:17], v[8:9]
	v_mul_f64_e32 v[8:9], v[14:15], v[8:9]
	s_delay_alu instid0(VALU_DEP_4) | instskip(NEXT) | instid1(VALU_DEP_4)
	v_fma_f64 v[10:11], v[10:11], v[2:3], v[18:19]
	v_fma_f64 v[4:5], v[2:3], v[12:13], -v[4:5]
	s_delay_alu instid0(VALU_DEP_4) | instskip(NEXT) | instid1(VALU_DEP_4)
	v_fma_f64 v[12:13], v[14:15], v[6:7], v[20:21]
	v_fma_f64 v[8:9], v[6:7], v[16:17], -v[8:9]
	s_delay_alu instid0(VALU_DEP_4) | instskip(NEXT) | instid1(VALU_DEP_4)
	v_mul_f64_e32 v[2:3], s[2:3], v[10:11]
	v_mul_f64_e32 v[4:5], s[2:3], v[4:5]
	s_delay_alu instid0(VALU_DEP_4) | instskip(NEXT) | instid1(VALU_DEP_4)
	v_mul_f64_e32 v[6:7], s[2:3], v[12:13]
	v_mul_f64_e32 v[8:9], s[2:3], v[8:9]
	v_add_co_u32 v10, vcc_lo, v0, s6
	s_wait_alu 0xfffd
	v_add_co_ci_u32_e32 v11, vcc_lo, s7, v1, vcc_lo
	global_store_b128 v[0:1], v[2:5], off
	global_store_b128 v[10:11], v[6:9], off
.LBB0_23:
	s_nop 0
	s_sendmsg sendmsg(MSG_DEALLOC_VGPRS)
	s_endpgm
	.section	.rodata,"a",@progbits
	.p2align	6, 0x0
	.amdhsa_kernel bluestein_single_fwd_len1274_dim1_dp_op_CI_CI
		.amdhsa_group_segment_fixed_size 20384
		.amdhsa_private_segment_fixed_size 300
		.amdhsa_kernarg_size 104
		.amdhsa_user_sgpr_count 2
		.amdhsa_user_sgpr_dispatch_ptr 0
		.amdhsa_user_sgpr_queue_ptr 0
		.amdhsa_user_sgpr_kernarg_segment_ptr 1
		.amdhsa_user_sgpr_dispatch_id 0
		.amdhsa_user_sgpr_private_segment_size 0
		.amdhsa_wavefront_size32 1
		.amdhsa_uses_dynamic_stack 0
		.amdhsa_enable_private_segment 1
		.amdhsa_system_sgpr_workgroup_id_x 1
		.amdhsa_system_sgpr_workgroup_id_y 0
		.amdhsa_system_sgpr_workgroup_id_z 0
		.amdhsa_system_sgpr_workgroup_info 0
		.amdhsa_system_vgpr_workitem_id 0
		.amdhsa_next_free_vgpr 256
		.amdhsa_next_free_sgpr 44
		.amdhsa_reserve_vcc 1
		.amdhsa_float_round_mode_32 0
		.amdhsa_float_round_mode_16_64 0
		.amdhsa_float_denorm_mode_32 3
		.amdhsa_float_denorm_mode_16_64 3
		.amdhsa_fp16_overflow 0
		.amdhsa_workgroup_processor_mode 1
		.amdhsa_memory_ordered 1
		.amdhsa_forward_progress 0
		.amdhsa_round_robin_scheduling 0
		.amdhsa_exception_fp_ieee_invalid_op 0
		.amdhsa_exception_fp_denorm_src 0
		.amdhsa_exception_fp_ieee_div_zero 0
		.amdhsa_exception_fp_ieee_overflow 0
		.amdhsa_exception_fp_ieee_underflow 0
		.amdhsa_exception_fp_ieee_inexact 0
		.amdhsa_exception_int_div_zero 0
	.end_amdhsa_kernel
	.text
.Lfunc_end0:
	.size	bluestein_single_fwd_len1274_dim1_dp_op_CI_CI, .Lfunc_end0-bluestein_single_fwd_len1274_dim1_dp_op_CI_CI
                                        ; -- End function
	.section	.AMDGPU.csdata,"",@progbits
; Kernel info:
; codeLenInByte = 15448
; NumSgprs: 46
; NumVgprs: 256
; ScratchSize: 300
; MemoryBound: 0
; FloatMode: 240
; IeeeMode: 1
; LDSByteSize: 20384 bytes/workgroup (compile time only)
; SGPRBlocks: 5
; VGPRBlocks: 31
; NumSGPRsForWavesPerEU: 46
; NumVGPRsForWavesPerEU: 256
; Occupancy: 5
; WaveLimiterHint : 1
; COMPUTE_PGM_RSRC2:SCRATCH_EN: 1
; COMPUTE_PGM_RSRC2:USER_SGPR: 2
; COMPUTE_PGM_RSRC2:TRAP_HANDLER: 0
; COMPUTE_PGM_RSRC2:TGID_X_EN: 1
; COMPUTE_PGM_RSRC2:TGID_Y_EN: 0
; COMPUTE_PGM_RSRC2:TGID_Z_EN: 0
; COMPUTE_PGM_RSRC2:TIDIG_COMP_CNT: 0
	.text
	.p2alignl 7, 3214868480
	.fill 96, 4, 3214868480
	.type	__hip_cuid_5542b6151be9c270,@object ; @__hip_cuid_5542b6151be9c270
	.section	.bss,"aw",@nobits
	.globl	__hip_cuid_5542b6151be9c270
__hip_cuid_5542b6151be9c270:
	.byte	0                               ; 0x0
	.size	__hip_cuid_5542b6151be9c270, 1

	.ident	"AMD clang version 19.0.0git (https://github.com/RadeonOpenCompute/llvm-project roc-6.4.0 25133 c7fe45cf4b819c5991fe208aaa96edf142730f1d)"
	.section	".note.GNU-stack","",@progbits
	.addrsig
	.addrsig_sym __hip_cuid_5542b6151be9c270
	.amdgpu_metadata
---
amdhsa.kernels:
  - .args:
      - .actual_access:  read_only
        .address_space:  global
        .offset:         0
        .size:           8
        .value_kind:     global_buffer
      - .actual_access:  read_only
        .address_space:  global
        .offset:         8
        .size:           8
        .value_kind:     global_buffer
      - .actual_access:  read_only
        .address_space:  global
        .offset:         16
        .size:           8
        .value_kind:     global_buffer
      - .actual_access:  read_only
        .address_space:  global
        .offset:         24
        .size:           8
        .value_kind:     global_buffer
      - .actual_access:  read_only
        .address_space:  global
        .offset:         32
        .size:           8
        .value_kind:     global_buffer
      - .offset:         40
        .size:           8
        .value_kind:     by_value
      - .address_space:  global
        .offset:         48
        .size:           8
        .value_kind:     global_buffer
      - .address_space:  global
        .offset:         56
        .size:           8
        .value_kind:     global_buffer
      - .address_space:  global
        .offset:         64
        .size:           8
        .value_kind:     global_buffer
      - .address_space:  global
        .offset:         72
        .size:           8
        .value_kind:     global_buffer
      - .offset:         80
        .size:           4
        .value_kind:     by_value
      - .address_space:  global
        .offset:         88
        .size:           8
        .value_kind:     global_buffer
      - .address_space:  global
        .offset:         96
        .size:           8
        .value_kind:     global_buffer
    .group_segment_fixed_size: 20384
    .kernarg_segment_align: 8
    .kernarg_segment_size: 104
    .language:       OpenCL C
    .language_version:
      - 2
      - 0
    .max_flat_workgroup_size: 182
    .name:           bluestein_single_fwd_len1274_dim1_dp_op_CI_CI
    .private_segment_fixed_size: 300
    .sgpr_count:     46
    .sgpr_spill_count: 0
    .symbol:         bluestein_single_fwd_len1274_dim1_dp_op_CI_CI.kd
    .uniform_work_group_size: 1
    .uses_dynamic_stack: false
    .vgpr_count:     256
    .vgpr_spill_count: 74
    .wavefront_size: 32
    .workgroup_processor_mode: 1
amdhsa.target:   amdgcn-amd-amdhsa--gfx1201
amdhsa.version:
  - 1
  - 2
...

	.end_amdgpu_metadata
